;; amdgpu-corpus repo=ROCm/rocFFT kind=compiled arch=gfx906 opt=O3
	.text
	.amdgcn_target "amdgcn-amd-amdhsa--gfx906"
	.amdhsa_code_object_version 6
	.protected	bluestein_single_fwd_len1768_dim1_sp_op_CI_CI ; -- Begin function bluestein_single_fwd_len1768_dim1_sp_op_CI_CI
	.globl	bluestein_single_fwd_len1768_dim1_sp_op_CI_CI
	.p2align	8
	.type	bluestein_single_fwd_len1768_dim1_sp_op_CI_CI,@function
bluestein_single_fwd_len1768_dim1_sp_op_CI_CI: ; @bluestein_single_fwd_len1768_dim1_sp_op_CI_CI
; %bb.0:
	s_load_dwordx4 s[0:3], s[4:5], 0x28
	v_mul_u32_u24_e32 v1, 0x1e2, v0
	v_add_u32_sdwa v180, s6, v1 dst_sel:DWORD dst_unused:UNUSED_PAD src0_sel:DWORD src1_sel:WORD_1
	v_mov_b32_e32 v181, 0
	s_waitcnt lgkmcnt(0)
	v_cmp_gt_u64_e32 vcc, s[0:1], v[180:181]
	s_and_saveexec_b64 s[0:1], vcc
	s_cbranch_execz .LBB0_23
; %bb.1:
	s_load_dwordx2 s[12:13], s[4:5], 0x0
	s_load_dwordx2 s[14:15], s[4:5], 0x38
	s_movk_i32 s0, 0x88
	v_mul_lo_u16_sdwa v1, v1, s0 dst_sel:DWORD dst_unused:UNUSED_PAD src0_sel:WORD_1 src1_sel:DWORD
	v_sub_u16_e32 v196, v0, v1
	s_movk_i32 s0, 0x68
	v_cmp_gt_u16_e32 vcc, s0, v196
	v_lshlrev_b32_e32 v98, 3, v196
	s_and_saveexec_b64 s[6:7], vcc
	s_cbranch_execz .LBB0_3
; %bb.2:
	s_load_dwordx2 s[0:1], s[4:5], 0x18
	v_or_b32_e32 v70, 0x680, v196
	s_waitcnt lgkmcnt(0)
	s_load_dwordx4 s[8:11], s[0:1], 0x0
	s_waitcnt lgkmcnt(0)
	v_mad_u64_u32 v[0:1], s[0:1], s10, v180, 0
	v_mad_u64_u32 v[2:3], s[0:1], s8, v196, 0
	;; [unrolled: 1-line block ×4, first 2 shown]
	v_mov_b32_e32 v1, v4
	v_lshlrev_b64 v[0:1], 3, v[0:1]
	v_mov_b32_e32 v3, v5
	v_mov_b32_e32 v6, s3
	v_lshlrev_b64 v[2:3], 3, v[2:3]
	v_add_co_u32_e64 v67, s[0:1], s2, v0
	v_addc_co_u32_e64 v68, s[0:1], v6, v1, s[0:1]
	v_add_co_u32_e64 v0, s[0:1], v67, v2
	v_addc_co_u32_e64 v1, s[0:1], v68, v3, s[0:1]
	v_mov_b32_e32 v2, s13
	v_add_co_u32_e64 v66, s[0:1], s12, v98
	v_addc_co_u32_e64 v69, s[0:1], 0, v2, s[0:1]
	s_mul_i32 s0, s9, 0x340
	s_mul_hi_u32 s3, s8, 0x340
	s_add_i32 s3, s3, s0
	s_mul_i32 s2, s8, 0x340
	v_mov_b32_e32 v3, s3
	v_add_co_u32_e64 v2, s[0:1], s2, v0
	v_addc_co_u32_e64 v3, s[0:1], v1, v3, s[0:1]
	v_mov_b32_e32 v5, s3
	v_add_co_u32_e64 v4, s[0:1], s2, v2
	v_addc_co_u32_e64 v5, s[0:1], v3, v5, s[0:1]
	;; [unrolled: 3-line block ×3, first 2 shown]
	global_load_dwordx2 v[6:7], v98, s[12:13]
	global_load_dwordx2 v[8:9], v98, s[12:13] offset:832
	global_load_dwordx2 v[10:11], v98, s[12:13] offset:1664
	global_load_dwordx2 v[14:15], v[0:1], off
	global_load_dwordx2 v[16:17], v[2:3], off
	;; [unrolled: 1-line block ×4, first 2 shown]
	v_mov_b32_e32 v1, s3
	v_add_co_u32_e64 v0, s[0:1], s2, v12
	v_addc_co_u32_e64 v1, s[0:1], v13, v1, s[0:1]
	global_load_dwordx2 v[2:3], v[0:1], off
	global_load_dwordx2 v[4:5], v98, s[12:13] offset:2496
	global_load_dwordx2 v[12:13], v98, s[12:13] offset:3328
	v_mov_b32_e32 v22, s3
	v_add_co_u32_e64 v0, s[0:1], s2, v0
	v_addc_co_u32_e64 v1, s[0:1], v1, v22, s[0:1]
	s_movk_i32 s0, 0x1000
	v_add_co_u32_e64 v24, s[0:1], s0, v66
	v_addc_co_u32_e64 v25, s[0:1], 0, v69, s[0:1]
	global_load_dwordx2 v[22:23], v[0:1], off
	v_mov_b32_e32 v26, s3
	v_add_co_u32_e64 v0, s[0:1], s2, v0
	v_addc_co_u32_e64 v1, s[0:1], v1, v26, s[0:1]
	global_load_dwordx2 v[26:27], v[0:1], off
	v_mov_b32_e32 v28, s3
	;; [unrolled: 4-line block ×3, first 2 shown]
	v_add_co_u32_e64 v0, s[0:1], s2, v0
	v_addc_co_u32_e64 v1, s[0:1], v1, v30, s[0:1]
	global_load_dwordx2 v[30:31], v[0:1], off
	global_load_dwordx2 v[32:33], v[24:25], off offset:64
	global_load_dwordx2 v[34:35], v[24:25], off offset:896
	;; [unrolled: 1-line block ×4, first 2 shown]
	v_mov_b32_e32 v40, s3
	v_add_co_u32_e64 v0, s[0:1], s2, v0
	v_addc_co_u32_e64 v1, s[0:1], v1, v40, s[0:1]
	global_load_dwordx2 v[40:41], v[0:1], off
	global_load_dwordx2 v[42:43], v[24:25], off offset:3392
	v_mov_b32_e32 v24, s3
	v_add_co_u32_e64 v0, s[0:1], s2, v0
	v_addc_co_u32_e64 v1, s[0:1], v1, v24, s[0:1]
	s_movk_i32 s0, 0x2000
	v_add_co_u32_e64 v44, s[0:1], s0, v66
	v_addc_co_u32_e64 v45, s[0:1], 0, v69, s[0:1]
	global_load_dwordx2 v[24:25], v[0:1], off
	v_mov_b32_e32 v46, s3
	v_add_co_u32_e64 v0, s[0:1], s2, v0
	v_addc_co_u32_e64 v1, s[0:1], v1, v46, s[0:1]
	global_load_dwordx2 v[46:47], v[0:1], off
	v_mov_b32_e32 v48, s3
	;; [unrolled: 4-line block ×3, first 2 shown]
	v_add_co_u32_e64 v0, s[0:1], s2, v0
	v_addc_co_u32_e64 v1, s[0:1], v1, v50, s[0:1]
	global_load_dwordx2 v[50:51], v[0:1], off
	global_load_dwordx2 v[52:53], v[44:45], off offset:128
	global_load_dwordx2 v[54:55], v[44:45], off offset:960
	;; [unrolled: 1-line block ×4, first 2 shown]
	v_mov_b32_e32 v60, s3
	v_add_co_u32_e64 v0, s[0:1], s2, v0
	v_addc_co_u32_e64 v1, s[0:1], v1, v60, s[0:1]
	global_load_dwordx2 v[60:61], v[0:1], off
	global_load_dwordx2 v[62:63], v[44:45], off offset:3456
	v_mad_u64_u32 v[44:45], s[0:1], s8, v70, 0
	v_mov_b32_e32 v64, s3
	v_add_co_u32_e64 v0, s[0:1], s2, v0
	v_addc_co_u32_e64 v1, s[0:1], v1, v64, s[0:1]
	s_movk_i32 s2, 0x3000
	global_load_dwordx2 v[0:1], v[0:1], off
	s_waitcnt vmcnt(9)
	v_mad_u64_u32 v[64:65], s[0:1], s9, v70, v[45:46]
	v_add_co_u32_e64 v65, s[0:1], s2, v66
	v_mov_b32_e32 v45, v64
	v_addc_co_u32_e64 v66, s[0:1], 0, v69, s[0:1]
	v_lshlrev_b64 v[44:45], 3, v[44:45]
	global_load_dwordx2 v[65:66], v[65:66], off offset:192
	v_add_co_u32_e64 v44, s[0:1], v67, v44
	v_addc_co_u32_e64 v45, s[0:1], v68, v45, s[0:1]
	v_lshlrev_b32_e32 v64, 3, v70
	global_load_dwordx2 v[44:45], v[44:45], off
	v_mul_f32_e32 v69, v15, v7
	global_load_dwordx2 v[67:68], v64, s[12:13]
	v_mul_f32_e32 v7, v14, v7
	v_fmac_f32_e32 v69, v14, v6
	v_fma_f32 v70, v15, v6, -v7
	v_mul_f32_e32 v6, v17, v9
	v_mul_f32_e32 v7, v16, v9
	v_fmac_f32_e32 v6, v16, v8
	v_fma_f32 v7, v17, v8, -v7
	ds_write2_b64 v98, v[69:70], v[6:7] offset1:104
	v_mul_f32_e32 v6, v19, v11
	v_mul_f32_e32 v7, v18, v11
	;; [unrolled: 1-line block ×4, first 2 shown]
	v_fmac_f32_e32 v6, v18, v10
	v_fma_f32 v7, v19, v10, -v7
	v_fmac_f32_e32 v8, v20, v4
	v_fma_f32 v9, v21, v4, -v5
	v_add_u32_e32 v4, 0x400, v98
	ds_write2_b64 v4, v[6:7], v[8:9] offset0:80 offset1:184
	v_mul_f32_e32 v4, v3, v13
	v_fmac_f32_e32 v4, v2, v12
	v_mul_f32_e32 v2, v2, v13
	v_fma_f32 v5, v3, v12, -v2
	v_mul_f32_e32 v2, v23, v33
	v_mul_f32_e32 v3, v22, v33
	v_fmac_f32_e32 v2, v22, v32
	v_fma_f32 v3, v23, v32, -v3
	v_add_u32_e32 v6, 0xc00, v98
	ds_write2_b64 v6, v[4:5], v[2:3] offset0:32 offset1:136
	v_mul_f32_e32 v2, v27, v35
	v_mul_f32_e32 v3, v26, v35
	;; [unrolled: 1-line block ×4, first 2 shown]
	v_fmac_f32_e32 v2, v26, v34
	v_fma_f32 v3, v27, v34, -v3
	v_fmac_f32_e32 v4, v28, v36
	v_fma_f32 v5, v29, v36, -v5
	v_add_u32_e32 v6, 0x1000, v98
	ds_write2_b64 v6, v[2:3], v[4:5] offset0:112 offset1:216
	v_mul_f32_e32 v2, v31, v39
	v_mul_f32_e32 v3, v30, v39
	;; [unrolled: 1-line block ×4, first 2 shown]
	v_fmac_f32_e32 v2, v30, v38
	v_fma_f32 v3, v31, v38, -v3
	v_fmac_f32_e32 v4, v40, v42
	v_fma_f32 v5, v41, v42, -v5
	v_add_u32_e32 v6, 0x1800, v98
	ds_write2_b64 v6, v[2:3], v[4:5] offset0:64 offset1:168
	s_waitcnt vmcnt(9)
	v_mul_f32_e32 v2, v25, v53
	v_mul_f32_e32 v3, v24, v53
	s_waitcnt vmcnt(8)
	v_mul_f32_e32 v4, v47, v55
	v_mul_f32_e32 v5, v46, v55
	v_fmac_f32_e32 v2, v24, v52
	v_fma_f32 v3, v25, v52, -v3
	v_fmac_f32_e32 v4, v46, v54
	v_fma_f32 v5, v47, v54, -v5
	v_add_u32_e32 v6, 0x2000, v98
	ds_write2_b64 v6, v[2:3], v[4:5] offset0:16 offset1:120
	s_waitcnt vmcnt(7)
	v_mul_f32_e32 v2, v49, v57
	v_mul_f32_e32 v3, v48, v57
	s_waitcnt vmcnt(6)
	v_mul_f32_e32 v4, v51, v59
	v_mul_f32_e32 v5, v50, v59
	v_fmac_f32_e32 v2, v48, v56
	v_fma_f32 v3, v49, v56, -v3
	v_fmac_f32_e32 v4, v50, v58
	v_fma_f32 v5, v51, v58, -v5
	v_add_u32_e32 v6, 0x2400, v98
	ds_write2_b64 v6, v[2:3], v[4:5] offset0:96 offset1:200
	s_waitcnt vmcnt(4)
	v_mul_f32_e32 v2, v61, v63
	v_mul_f32_e32 v3, v60, v63
	v_fmac_f32_e32 v2, v60, v62
	s_waitcnt vmcnt(2)
	v_mul_f32_e32 v4, v1, v66
	v_fmac_f32_e32 v4, v0, v65
	v_mul_f32_e32 v0, v0, v66
	v_fma_f32 v3, v61, v62, -v3
	v_fma_f32 v5, v1, v65, -v0
	v_add_u32_e32 v0, 0x2c00, v98
	ds_write2_b64 v0, v[2:3], v[4:5] offset0:48 offset1:152
	s_waitcnt vmcnt(0)
	v_mul_f32_e32 v0, v45, v68
	v_mul_f32_e32 v1, v44, v68
	v_fmac_f32_e32 v0, v44, v67
	v_fma_f32 v1, v45, v67, -v1
	ds_write_b64 v98, v[0:1] offset:13312
.LBB0_3:
	s_or_b64 exec, exec, s[6:7]
	s_load_dwordx2 s[0:1], s[4:5], 0x20
	s_load_dwordx2 s[2:3], s[4:5], 0x8
	v_mov_b32_e32 v0, 0
	v_mov_b32_e32 v1, 0
	s_waitcnt lgkmcnt(0)
	s_barrier
	s_waitcnt lgkmcnt(0)
                                        ; implicit-def: $vgpr30
                                        ; implicit-def: $vgpr32
                                        ; implicit-def: $vgpr26
                                        ; implicit-def: $vgpr22
                                        ; implicit-def: $vgpr18
                                        ; implicit-def: $vgpr14
                                        ; implicit-def: $vgpr10
                                        ; implicit-def: $vgpr6
	s_and_saveexec_b64 s[4:5], vcc
	s_cbranch_execz .LBB0_5
; %bb.4:
	v_add_u32_e32 v4, 0x400, v98
	v_add_u32_e32 v8, 0xc00, v98
	;; [unrolled: 1-line block ×7, first 2 shown]
	ds_read2_b64 v[0:3], v98 offset1:104
	ds_read2_b64 v[4:7], v4 offset0:80 offset1:184
	ds_read2_b64 v[8:11], v8 offset0:32 offset1:136
	;; [unrolled: 1-line block ×7, first 2 shown]
	ds_read_b64 v[32:33], v98 offset:13312
.LBB0_5:
	s_or_b64 exec, exec, s[4:5]
	s_waitcnt lgkmcnt(0)
	v_sub_f32_e32 v86, v3, v33
	v_mul_f32_e32 v38, 0xbeb8f4ab, v86
	v_sub_f32_e32 v96, v5, v31
	v_add_f32_e32 v46, v32, v2
	v_sub_f32_e32 v53, v2, v32
	v_mov_b32_e32 v34, v38
	v_mul_f32_e32 v40, 0xbf2c7751, v96
	v_add_f32_e32 v95, v33, v3
	s_mov_b32 s6, 0x3f6eb680
	v_mul_f32_e32 v39, 0xbeb8f4ab, v53
	v_fmac_f32_e32 v34, 0x3f6eb680, v46
	v_add_f32_e32 v56, v30, v4
	v_sub_f32_e32 v59, v4, v30
	v_mov_b32_e32 v36, v40
	v_add_f32_e32 v34, v34, v0
	v_fma_f32 v35, v95, s6, -v39
	s_mov_b32 s7, 0x3f3d2fb0
	v_add_f32_e32 v108, v31, v5
	v_mul_f32_e32 v41, 0xbf2c7751, v59
	v_fmac_f32_e32 v36, 0x3f3d2fb0, v56
	v_sub_f32_e32 v109, v7, v29
	v_add_f32_e32 v35, v35, v1
	v_add_f32_e32 v34, v36, v34
	v_fma_f32 v36, v108, s7, -v41
	v_mul_f32_e32 v42, 0xbf65296c, v109
	v_add_f32_e32 v35, v36, v35
	v_add_f32_e32 v61, v28, v6
	v_sub_f32_e32 v63, v6, v28
	v_mov_b32_e32 v36, v42
	s_mov_b32 s8, 0x3ee437d1
	v_add_f32_e32 v111, v29, v7
	v_mul_f32_e32 v43, 0xbf65296c, v63
	v_fmac_f32_e32 v36, 0x3ee437d1, v61
	v_sub_f32_e32 v110, v9, v27
	v_add_f32_e32 v34, v36, v34
	v_fma_f32 v36, v111, s8, -v43
	v_mul_f32_e32 v44, 0xbf7ee86f, v110
	v_add_f32_e32 v35, v36, v35
	v_add_f32_e32 v65, v26, v8
	v_sub_f32_e32 v67, v8, v26
	v_mov_b32_e32 v36, v44
	s_mov_b32 s9, 0x3dbcf732
	v_add_f32_e32 v124, v27, v9
	v_mul_f32_e32 v45, 0xbf7ee86f, v67
	v_fmac_f32_e32 v36, 0x3dbcf732, v65
	v_sub_f32_e32 v123, v11, v25
	;; [unrolled: 12-line block ×5, first 2 shown]
	v_add_f32_e32 v34, v36, v34
	v_fma_f32 v36, v144, s17, -v62
	v_mul_f32_e32 v64, 0xbe3c28d5, v178
	v_add_f32_e32 v35, v36, v35
	v_add_f32_e32 v94, v18, v16
	v_mov_b32_e32 v36, v64
	v_sub_f32_e32 v102, v16, v18
	s_mov_b32 s11, 0xbf7ba420
	v_fmac_f32_e32 v36, 0xbf7ba420, v94
	v_add_f32_e32 v152, v19, v17
	v_mul_f32_e32 v66, 0xbe3c28d5, v102
	v_add_f32_e32 v89, v36, v34
	v_fma_f32 v34, v152, s11, -v66
	v_mul_f32_e32 v70, 0xbf2c7751, v86
	v_add_f32_e32 v90, v34, v35
	v_mov_b32_e32 v34, v70
	v_mul_f32_e32 v71, 0xbf7ee86f, v96
	v_fmac_f32_e32 v34, 0x3f3d2fb0, v46
	v_mov_b32_e32 v35, v71
	v_add_f32_e32 v34, v34, v0
	v_fmac_f32_e32 v35, 0x3dbcf732, v56
	v_mul_f32_e32 v76, 0xbf2c7751, v53
	v_add_f32_e32 v34, v35, v34
	v_fma_f32 v35, v95, s7, -v76
	v_mul_f32_e32 v77, 0xbf7ee86f, v59
	v_add_f32_e32 v35, v35, v1
	v_fma_f32 v36, v108, s9, -v77
	v_mul_f32_e32 v73, 0xbf4c4adb, v109
	v_add_f32_e32 v35, v36, v35
	v_mov_b32_e32 v36, v73
	v_fmac_f32_e32 v36, 0xbf1a4643, v61
	v_mul_f32_e32 v80, 0xbf4c4adb, v63
	v_add_f32_e32 v34, v36, v34
	v_fma_f32 v36, v111, s10, -v80
	v_mul_f32_e32 v74, 0xbe3c28d5, v110
	v_add_f32_e32 v35, v36, v35
	v_mov_b32_e32 v36, v74
	v_fmac_f32_e32 v36, 0xbf7ba420, v65
	;; [unrolled: 7-line block ×6, first 2 shown]
	v_mul_f32_e32 v92, 0x3eb8f4ab, v102
	v_mul_f32_e32 v99, 0xbf65296c, v86
	v_fma_f32 v37, v152, s6, -v92
	v_add_f32_e32 v50, v36, v34
	v_mov_b32_e32 v34, v99
	v_mul_f32_e32 v100, 0xbf4c4adb, v96
	v_add_f32_e32 v51, v37, v35
	v_fmac_f32_e32 v34, 0x3ee437d1, v46
	v_mov_b32_e32 v35, v100
	v_add_f32_e32 v34, v34, v0
	v_fmac_f32_e32 v35, 0xbf1a4643, v56
	v_mul_f32_e32 v101, 0x3e3c28d5, v109
	v_add_f32_e32 v34, v35, v34
	v_mov_b32_e32 v35, v101
	v_fmac_f32_e32 v35, 0xbf7ba420, v61
	v_mul_f32_e32 v103, 0x3f763a35, v110
	v_add_f32_e32 v34, v35, v34
	v_mov_b32_e32 v35, v103
	;; [unrolled: 4-line block ×6, first 2 shown]
	v_fmac_f32_e32 v35, 0xbf59a7d5, v94
	v_mul_f32_e32 v112, 0xbf65296c, v53
	v_add_f32_e32 v48, v35, v34
	v_fma_f32 v34, v95, s8, -v112
	v_mul_f32_e32 v113, 0xbf4c4adb, v59
	v_add_f32_e32 v34, v34, v1
	v_fma_f32 v35, v108, s10, -v113
	;; [unrolled: 3-line block ×8, first 2 shown]
	v_mul_f32_e32 v129, 0xbf7ee86f, v86
	v_add_f32_e32 v49, v35, v34
	v_mov_b32_e32 v34, v129
	v_mul_f32_e32 v132, 0xbe3c28d5, v96
	v_fmac_f32_e32 v34, 0x3dbcf732, v46
	v_mov_b32_e32 v35, v132
	v_add_f32_e32 v34, v34, v0
	v_fmac_f32_e32 v35, 0xbf7ba420, v56
	v_mul_f32_e32 v148, 0xbf7ee86f, v53
	v_add_f32_e32 v34, v35, v34
	v_fma_f32 v35, v95, s9, -v148
	v_mul_f32_e32 v150, 0xbe3c28d5, v59
	v_add_f32_e32 v35, v35, v1
	v_fma_f32 v36, v108, s11, -v150
	v_mul_f32_e32 v136, 0x3f763a35, v109
	v_add_f32_e32 v35, v36, v35
	v_mov_b32_e32 v36, v136
	v_fmac_f32_e32 v36, 0xbe8c1d8e, v61
	v_mul_f32_e32 v155, 0x3f763a35, v63
	v_add_f32_e32 v34, v36, v34
	v_fma_f32 v36, v111, s16, -v155
	v_mul_f32_e32 v141, 0x3eb8f4ab, v110
	v_add_f32_e32 v35, v36, v35
	v_mov_b32_e32 v36, v141
	v_fmac_f32_e32 v36, 0x3f6eb680, v65
	;; [unrolled: 7-line block ×5, first 2 shown]
	v_mul_f32_e32 v170, 0x3f4c4adb, v93
	v_add_f32_e32 v34, v36, v34
	v_fma_f32 v36, v144, s10, -v170
	v_mul_f32_e32 v160, 0x3f2c7751, v178
	v_add_f32_e32 v35, v36, v35
	v_mov_b32_e32 v36, v160
	v_mul_f32_e32 v173, 0x3f2c7751, v102
	v_fmac_f32_e32 v36, 0x3f3d2fb0, v94
	v_fma_f32 v37, v152, s7, -v173
	v_add_f32_e32 v54, v36, v34
	v_add_f32_e32 v55, v37, v35
	s_barrier
	s_and_saveexec_b64 s[4:5], vcc
	s_cbranch_execz .LBB0_7
; %bb.6:
	v_mul_f32_e32 v198, 0xbe8c1d8e, v95
	v_mov_b32_e32 v34, v198
	v_mul_f32_e32 v199, 0xbf59a7d5, v108
	v_fmac_f32_e32 v34, 0x3f763a35, v53
	v_mov_b32_e32 v35, v199
	v_add_f32_e32 v34, v34, v1
	v_fmac_f32_e32 v35, 0xbf06c442, v59
	v_mul_f32_e32 v200, 0x3f3d2fb0, v111
	v_add_f32_e32 v34, v35, v34
	v_mov_b32_e32 v35, v200
	v_fmac_f32_e32 v35, 0xbf2c7751, v63
	v_mul_f32_e32 v201, 0x3ee437d1, v124
	v_add_f32_e32 v34, v35, v34
	v_mov_b32_e32 v35, v201
	v_fmac_f32_e32 v35, 0x3f65296c, v67
	v_mul_f32_e32 v202, 0xbf7ba420, v140
	v_add_f32_e32 v34, v35, v34
	v_mov_b32_e32 v35, v202
	v_fmac_f32_e32 v35, 0x3e3c28d5, v69
	v_mul_f32_e32 v203, 0x3dbcf732, v166
	v_add_f32_e32 v34, v35, v34
	v_mov_b32_e32 v35, v203
	v_fmac_f32_e32 v35, 0xbf7ee86f, v79
	v_mul_f32_e32 v204, 0x3f6eb680, v144
	v_add_f32_e32 v34, v35, v34
	v_mov_b32_e32 v35, v204
	v_fmac_f32_e32 v35, 0x3eb8f4ab, v93
	v_mul_f32_e32 v205, 0xbf1a4643, v152
	v_add_f32_e32 v34, v35, v34
	v_mov_b32_e32 v35, v205
	v_fmac_f32_e32 v35, 0x3f4c4adb, v102
	v_mul_f32_e32 v206, 0xbf763a35, v86
	v_add_f32_e32 v35, v35, v34
	v_mov_b32_e32 v34, v206
	v_mul_f32_e32 v207, 0x3f06c442, v96
	v_fmac_f32_e32 v34, 0xbe8c1d8e, v46
	v_mov_b32_e32 v36, v207
	v_add_f32_e32 v34, v34, v0
	v_fmac_f32_e32 v36, 0xbf59a7d5, v56
	v_mul_f32_e32 v208, 0x3f2c7751, v109
	v_add_f32_e32 v34, v36, v34
	v_mov_b32_e32 v36, v208
	v_fmac_f32_e32 v36, 0x3f3d2fb0, v61
	v_mul_f32_e32 v209, 0xbf65296c, v110
	v_add_f32_e32 v34, v36, v34
	v_mov_b32_e32 v36, v209
	v_fmac_f32_e32 v36, 0x3ee437d1, v65
	v_mul_f32_e32 v210, 0xbe3c28d5, v123
	v_add_f32_e32 v34, v36, v34
	v_mov_b32_e32 v36, v210
	v_fmac_f32_e32 v36, 0xbf7ba420, v68
	v_mul_f32_e32 v211, 0x3f7ee86f, v139
	v_add_f32_e32 v34, v36, v34
	v_mov_b32_e32 v36, v211
	v_fmac_f32_e32 v36, 0x3dbcf732, v72
	v_mul_f32_e32 v212, 0xbeb8f4ab, v164
	v_add_f32_e32 v34, v36, v34
	v_mov_b32_e32 v36, v212
	v_fmac_f32_e32 v36, 0x3f6eb680, v84
	v_mul_f32_e32 v213, 0xbf4c4adb, v178
	v_add_f32_e32 v34, v36, v34
	v_mov_b32_e32 v36, v213
	v_fmac_f32_e32 v36, 0xbf1a4643, v94
	v_mul_f32_e32 v214, 0xbf1a4643, v95
	v_add_f32_e32 v34, v36, v34
	v_mov_b32_e32 v36, v214
	v_mul_f32_e32 v215, 0xbe8c1d8e, v108
	v_fmac_f32_e32 v36, 0x3f4c4adb, v53
	v_mov_b32_e32 v37, v215
	v_add_f32_e32 v36, v36, v1
	v_fmac_f32_e32 v37, 0xbf763a35, v59
	v_mul_f32_e32 v216, 0x3f6eb680, v111
	v_add_f32_e32 v36, v37, v36
	v_mov_b32_e32 v37, v216
	v_fmac_f32_e32 v37, 0x3eb8f4ab, v63
	v_mul_f32_e32 v217, 0xbf59a7d5, v124
	v_add_f32_e32 v36, v37, v36
	v_mov_b32_e32 v37, v217
	v_fmac_f32_e32 v37, 0x3f06c442, v67
	v_mul_f32_e32 v218, 0x3dbcf732, v140
	v_add_f32_e32 v36, v37, v36
	v_mov_b32_e32 v37, v218
	v_fmac_f32_e32 v37, 0xbf7ee86f, v69
	v_mul_f32_e32 v219, 0x3f3d2fb0, v166
	v_add_f32_e32 v36, v37, v36
	v_mov_b32_e32 v37, v219
	v_fmac_f32_e32 v37, 0x3f2c7751, v79
	v_mul_f32_e32 v220, 0xbf7ba420, v144
	v_add_f32_e32 v36, v37, v36
	v_mov_b32_e32 v37, v220
	v_fmac_f32_e32 v37, 0x3e3c28d5, v93
	v_mul_f32_e32 v221, 0x3ee437d1, v152
	v_add_f32_e32 v36, v37, v36
	v_mov_b32_e32 v37, v221
	v_fmac_f32_e32 v37, 0xbf65296c, v102
	v_mul_f32_e32 v222, 0xbf4c4adb, v86
	v_add_f32_e32 v37, v37, v36
	v_mov_b32_e32 v36, v222
	v_mul_f32_e32 v223, 0x3f763a35, v96
	v_fmac_f32_e32 v36, 0xbf1a4643, v46
	v_mov_b32_e32 v179, v223
	v_add_f32_e32 v36, v36, v0
	v_fmac_f32_e32 v179, 0xbe8c1d8e, v56
	v_mul_f32_e32 v224, 0xbeb8f4ab, v109
	v_add_f32_e32 v36, v179, v36
	v_mov_b32_e32 v179, v224
	v_fmac_f32_e32 v179, 0x3f6eb680, v61
	v_mul_f32_e32 v225, 0xbf06c442, v110
	v_add_f32_e32 v36, v179, v36
	v_mov_b32_e32 v179, v225
	v_fmac_f32_e32 v179, 0xbf59a7d5, v65
	v_mul_f32_e32 v226, 0x3f7ee86f, v123
	v_add_f32_e32 v36, v179, v36
	v_mov_b32_e32 v179, v226
	v_fmac_f32_e32 v179, 0x3dbcf732, v68
	v_mul_f32_e32 v227, 0xbf2c7751, v139
	v_add_f32_e32 v36, v179, v36
	v_mov_b32_e32 v179, v227
	v_fmac_f32_e32 v179, 0x3f3d2fb0, v72
	v_mul_f32_e32 v228, 0xbe3c28d5, v164
	v_add_f32_e32 v36, v179, v36
	v_mov_b32_e32 v179, v228
	v_fmac_f32_e32 v179, 0xbf7ba420, v84
	v_mul_f32_e32 v229, 0x3f65296c, v178
	v_add_f32_e32 v36, v179, v36
	v_mov_b32_e32 v179, v229
	v_fmac_f32_e32 v179, 0x3ee437d1, v94
	v_mul_f32_e32 v230, 0xbf59a7d5, v95
	v_add_f32_e32 v36, v179, v36
	v_mov_b32_e32 v179, v230
	v_mul_f32_e32 v231, 0x3ee437d1, v108
	v_mov_b32_e32 v197, v180
	v_fmac_f32_e32 v179, 0x3f06c442, v53
	v_mov_b32_e32 v180, v231
	v_add_f32_e32 v179, v179, v1
	v_fmac_f32_e32 v180, 0xbf65296c, v59
	v_mul_f32_e32 v232, 0x3dbcf732, v111
	v_add_f32_e32 v179, v180, v179
	v_mov_b32_e32 v180, v232
	v_fmac_f32_e32 v180, 0x3f7ee86f, v63
	v_mul_f32_e32 v233, 0xbf1a4643, v124
	v_add_f32_e32 v179, v180, v179
	v_mov_b32_e32 v180, v233
	;; [unrolled: 4-line block ×7, first 2 shown]
	v_mul_f32_e32 v239, 0x3f65296c, v96
	v_fmac_f32_e32 v179, 0xbf59a7d5, v46
	v_mov_b32_e32 v240, v239
	v_add_f32_e32 v179, v179, v0
	v_fmac_f32_e32 v240, 0x3ee437d1, v56
	v_add_f32_e32 v179, v240, v179
	v_mul_f32_e32 v240, 0xbf7ee86f, v109
	v_mov_b32_e32 v241, v240
	v_fmac_f32_e32 v241, 0x3dbcf732, v61
	v_add_f32_e32 v179, v241, v179
	v_mul_f32_e32 v241, 0x3f4c4adb, v110
	v_mov_b32_e32 v242, v241
	;; [unrolled: 4-line block ×6, first 2 shown]
	v_mul_f32_e32 v125, 0x3f6eb680, v95
	v_mul_f32_e32 v146, 0x3f3d2fb0, v95
	;; [unrolled: 1-line block ×4, first 2 shown]
	v_fmac_f32_e32 v246, 0xbe8c1d8e, v94
	v_mul_f32_e32 v95, 0xbf7ba420, v95
	v_mul_f32_e32 v127, 0x3f3d2fb0, v108
	v_mul_f32_e32 v153, 0x3dbcf732, v108
	v_mul_f32_e32 v176, 0xbf1a4643, v108
	v_mul_f32_e32 v184, 0xbf7ba420, v108
	v_add_f32_e32 v179, v246, v179
	v_mov_b32_e32 v246, v95
	v_mul_f32_e32 v108, 0x3f6eb680, v108
	v_fmac_f32_e32 v246, 0x3e3c28d5, v53
	v_mov_b32_e32 v247, v108
	v_add_f32_e32 v246, v246, v1
	v_fmac_f32_e32 v247, 0xbeb8f4ab, v59
	v_add_f32_e32 v246, v247, v246
	v_mul_f32_e32 v247, 0xbf59a7d5, v111
	v_mul_f32_e32 v130, 0x3ee437d1, v111
	;; [unrolled: 1-line block ×5, first 2 shown]
	v_mov_b32_e32 v111, v247
	v_mul_f32_e32 v134, 0x3dbcf732, v124
	v_mul_f32_e32 v162, 0xbf7ba420, v124
	v_mul_f32_e32 v188, 0xbe8c1d8e, v124
	v_mul_f32_e32 v190, 0x3f6eb680, v124
	v_fmac_f32_e32 v111, 0x3f06c442, v63
	v_mul_f32_e32 v124, 0x3f3d2fb0, v124
	v_add_f32_e32 v111, v111, v246
	v_mov_b32_e32 v246, v124
	v_mul_f32_e32 v138, 0xbe8c1d8e, v140
	v_mul_f32_e32 v169, 0xbf59a7d5, v140
	v_mul_f32_e32 v191, 0x3f3d2fb0, v140
	v_mul_f32_e32 v192, 0x3ee437d1, v140
	v_fmac_f32_e32 v246, 0xbf2c7751, v67
	v_mul_f32_e32 v140, 0xbf1a4643, v140
	v_add_f32_e32 v111, v246, v111
	;; [unrolled: 8-line block ×3, first 2 shown]
	v_mov_b32_e32 v246, v166
	v_fmac_f32_e32 v246, 0xbf65296c, v79
	v_add_f32_e32 v111, v246, v111
	v_mul_f32_e32 v246, 0xbe8c1d8e, v144
	v_mov_b32_e32 v248, v246
	v_fmac_f32_e32 v248, 0x3f763a35, v93
	v_add_f32_e32 v111, v248, v111
	v_mul_f32_e32 v248, 0x3dbcf732, v152
	v_mov_b32_e32 v249, v248
	v_fmac_f32_e32 v249, 0xbf7ee86f, v102
	v_mul_f32_e32 v86, 0xbe3c28d5, v86
	v_fmac_f32_e32 v95, 0xbe3c28d5, v53
	v_add_f32_e32 v111, v249, v111
	v_mov_b32_e32 v249, v86
	v_mul_f32_e32 v96, 0x3eb8f4ab, v96
	v_add_f32_e32 v95, v95, v1
	v_fmac_f32_e32 v108, 0x3eb8f4ab, v59
	v_fmac_f32_e32 v249, 0xbf7ba420, v46
	v_mov_b32_e32 v250, v96
	v_add_f32_e32 v95, v108, v95
	v_fmac_f32_e32 v247, 0xbf06c442, v63
	v_add_f32_e32 v249, v249, v0
	v_fmac_f32_e32 v250, 0x3f6eb680, v56
	v_mul_f32_e32 v109, 0xbf06c442, v109
	v_add_f32_e32 v95, v247, v95
	v_fmac_f32_e32 v124, 0x3f2c7751, v67
	v_add_f32_e32 v249, v250, v249
	v_mov_b32_e32 v250, v109
	v_add_f32_e32 v95, v124, v95
	v_fmac_f32_e32 v140, 0xbf4c4adb, v69
	v_fma_f32 v86, v46, s11, -v86
	v_fmac_f32_e32 v250, 0xbf59a7d5, v61
	v_add_f32_e32 v95, v140, v95
	v_fmac_f32_e32 v166, 0x3f65296c, v79
	v_add_f32_e32 v86, v86, v0
	v_fma_f32 v96, v56, s6, -v96
	v_add_f32_e32 v249, v250, v249
	v_mul_f32_e32 v250, 0x3f2c7751, v110
	v_add_f32_e32 v95, v166, v95
	v_fmac_f32_e32 v246, 0xbf763a35, v93
	v_add_f32_e32 v86, v96, v86
	v_fma_f32 v96, v61, s17, -v109
	v_mul_f32_e32 v123, 0xbf4c4adb, v123
	v_add_f32_e32 v95, v246, v95
	v_add_f32_e32 v86, v96, v86
	v_fma_f32 v96, v65, s7, -v250
	v_fmac_f32_e32 v248, 0x3f7ee86f, v102
	v_mul_f32_e32 v139, 0x3f65296c, v139
	v_add_f32_e32 v86, v96, v86
	v_add_f32_e32 v96, v248, v95
	v_fma_f32 v95, v68, s10, -v123
	v_mul_f32_e32 v164, 0xbf763a35, v164
	v_add_f32_e32 v86, v95, v86
	v_fma_f32 v95, v72, s8, -v139
	v_mul_f32_e32 v178, 0x3f7ee86f, v178
	v_add_f32_e32 v86, v95, v86
	v_fma_f32 v95, v84, s16, -v164
	v_add_f32_e32 v86, v95, v86
	v_fma_f32 v95, v94, s9, -v178
	v_fmac_f32_e32 v230, 0xbf06c442, v53
	v_add_f32_e32 v95, v95, v86
	v_add_f32_e32 v86, v230, v1
	v_fmac_f32_e32 v231, 0x3f65296c, v59
	v_add_f32_e32 v86, v231, v86
	v_fmac_f32_e32 v232, 0xbf7ee86f, v63
	;; [unrolled: 2-line block ×7, first 2 shown]
	v_add_f32_e32 v109, v237, v86
	v_fma_f32 v86, v46, s17, -v238
	v_add_f32_e32 v86, v86, v0
	v_fma_f32 v108, v56, s8, -v239
	;; [unrolled: 2-line block ×8, first 2 shown]
	v_fmac_f32_e32 v214, 0xbf4c4adb, v53
	v_add_f32_e32 v108, v108, v86
	v_add_f32_e32 v86, v214, v1
	v_fmac_f32_e32 v215, 0x3f763a35, v59
	v_fmac_f32_e32 v198, 0xbf763a35, v53
	v_add_f32_e32 v86, v215, v86
	v_fmac_f32_e32 v216, 0xbeb8f4ab, v63
	v_add_f32_e32 v53, v198, v1
	;; [unrolled: 2-line block ×12, first 2 shown]
	v_fmac_f32_e32 v204, 0xbeb8f4ab, v93
	v_mul_f32_e32 v120, 0x3f6eb680, v46
	v_mul_f32_e32 v133, 0x3f3d2fb0, v46
	;; [unrolled: 1-line block ×4, first 2 shown]
	v_add_f32_e32 v124, v221, v86
	v_fma_f32 v86, v46, s10, -v222
	v_add_f32_e32 v53, v204, v53
	v_fmac_f32_e32 v205, 0xbf4c4adb, v102
	v_fma_f32 v46, v46, s16, -v206
	v_add_f32_e32 v69, v205, v53
	v_add_f32_e32 v46, v46, v0
	v_fma_f32 v53, v56, s17, -v207
	v_add_f32_e32 v46, v53, v46
	v_fma_f32 v53, v61, s7, -v208
	v_mov_b32_e32 v110, v250
	v_add_f32_e32 v46, v53, v46
	v_fma_f32 v53, v65, s8, -v209
	v_fmac_f32_e32 v110, 0x3f3d2fb0, v65
	v_add_f32_e32 v46, v53, v46
	v_fma_f32 v53, v68, s11, -v210
	v_add_f32_e32 v110, v110, v249
	v_mov_b32_e32 v249, v123
	v_add_f32_e32 v86, v86, v0
	v_fma_f32 v123, v56, s16, -v223
	v_add_f32_e32 v46, v53, v46
	v_fma_f32 v53, v72, s9, -v211
	v_fmac_f32_e32 v249, 0xbf1a4643, v68
	v_add_f32_e32 v86, v123, v86
	v_fma_f32 v123, v61, s6, -v224
	v_add_f32_e32 v46, v53, v46
	v_fma_f32 v53, v84, s6, -v212
	v_add_f32_e32 v110, v249, v110
	v_mov_b32_e32 v249, v139
	v_add_f32_e32 v86, v123, v86
	v_fma_f32 v123, v65, s17, -v225
	v_add_f32_e32 v46, v53, v46
	v_fma_f32 v53, v94, s10, -v213
	v_mul_f32_e32 v128, 0xbe8c1d8e, v68
	v_mul_f32_e32 v154, 0xbf59a7d5, v68
	;; [unrolled: 1-line block ×4, first 2 shown]
	v_fmac_f32_e32 v249, 0x3ee437d1, v72
	v_add_f32_e32 v86, v123, v86
	v_fma_f32 v123, v68, s9, -v226
	v_add_f32_e32 v68, v53, v46
	v_add_f32_e32 v46, v148, v182
	;; [unrolled: 1-line block ×3, first 2 shown]
	v_mov_b32_e32 v249, v164
	v_add_f32_e32 v46, v46, v1
	v_add_f32_e32 v53, v150, v184
	v_fmac_f32_e32 v249, 0xbe8c1d8e, v84
	v_add_f32_e32 v46, v53, v46
	v_add_f32_e32 v53, v155, v187
	;; [unrolled: 1-line block ×3, first 2 shown]
	v_mov_b32_e32 v249, v178
	v_add_f32_e32 v46, v53, v46
	v_add_f32_e32 v53, v158, v190
	v_fmac_f32_e32 v249, 0x3dbcf732, v94
	v_add_f32_e32 v46, v53, v46
	v_add_f32_e32 v53, v163, v192
	v_mul_f32_e32 v149, 0xbf59a7d5, v144
	v_add_f32_e32 v110, v249, v110
	v_mul_f32_e32 v249, 0x3ee437d1, v144
	v_mul_f32_e32 v252, 0x3dbcf732, v144
	;; [unrolled: 1-line block ×3, first 2 shown]
	v_add_f32_e32 v46, v53, v46
	v_add_f32_e32 v53, v168, v195
	v_mul_f32_e32 v140, 0xbf7ba420, v152
	v_mul_f32_e32 v246, 0x3f6eb680, v152
	;; [unrolled: 1-line block ×4, first 2 shown]
	v_add_f32_e32 v86, v123, v86
	v_fma_f32 v123, v72, s7, -v227
	v_add_f32_e32 v46, v53, v46
	v_add_f32_e32 v53, v170, v144
	;; [unrolled: 1-line block ×3, first 2 shown]
	v_fma_f32 v123, v84, s11, -v228
	v_add_f32_e32 v46, v53, v46
	v_add_f32_e32 v53, v173, v152
	v_mul_f32_e32 v183, 0xbf7ba420, v56
	v_mul_f32_e32 v253, 0xbf7ba420, v94
	;; [unrolled: 1-line block ×5, first 2 shown]
	v_add_f32_e32 v86, v123, v86
	v_fma_f32 v123, v94, s8, -v229
	v_add_f32_e32 v94, v53, v46
	v_sub_f32_e32 v46, v181, v129
	v_mul_f32_e32 v186, 0xbe8c1d8e, v61
	v_add_f32_e32 v46, v46, v0
	v_sub_f32_e32 v53, v183, v132
	v_mul_f32_e32 v189, 0x3f6eb680, v65
	v_add_f32_e32 v46, v53, v46
	v_sub_f32_e32 v53, v186, v136
	v_add_f32_e32 v46, v53, v46
	v_sub_f32_e32 v53, v189, v141
	v_mul_f32_e32 v194, 0xbf59a7d5, v72
	v_add_f32_e32 v46, v53, v46
	v_sub_f32_e32 v53, v88, v145
	v_mul_f32_e32 v247, 0xbf1a4643, v84
	v_add_f32_e32 v46, v53, v46
	v_sub_f32_e32 v53, v194, v151
	v_add_f32_e32 v46, v53, v46
	v_sub_f32_e32 v53, v247, v156
	;; [unrolled: 2-line block ×3, first 2 shown]
	v_add_f32_e32 v93, v53, v46
	v_add_f32_e32 v46, v112, v174
	;; [unrolled: 1-line block ×16, first 2 shown]
	v_mul_f32_e32 v167, 0xbf1a4643, v56
	v_add_f32_e32 v102, v53, v46
	v_sub_f32_e32 v46, v161, v99
	v_mul_f32_e32 v171, 0xbf7ba420, v61
	v_add_f32_e32 v46, v46, v0
	v_sub_f32_e32 v53, v167, v100
	;; [unrolled: 3-line block ×3, first 2 shown]
	v_add_f32_e32 v46, v53, v46
	v_sub_f32_e32 v53, v175, v103
	v_mul_f32_e32 v97, 0x3f6eb680, v72
	v_add_f32_e32 v46, v53, v46
	v_sub_f32_e32 v53, v177, v104
	v_mul_f32_e32 v251, 0x3dbcf732, v84
	v_add_f32_e32 v46, v53, v46
	v_sub_f32_e32 v53, v97, v105
	v_add_f32_e32 v46, v53, v46
	v_sub_f32_e32 v53, v251, v106
	v_add_f32_e32 v46, v53, v46
	v_sub_f32_e32 v53, v254, v107
	v_add_f32_e32 v101, v53, v46
	v_add_f32_e32 v46, v76, v146
	v_add_f32_e32 v46, v46, v1
	v_add_f32_e32 v53, v77, v153
	v_add_f32_e32 v46, v53, v46
	v_add_f32_e32 v53, v80, v157
	v_add_f32_e32 v46, v53, v46
	v_add_f32_e32 v53, v82, v162
	v_add_f32_e32 v46, v53, v46
	v_add_f32_e32 v53, v85, v169
	v_add_f32_e32 v46, v53, v46
	v_add_f32_e32 v53, v87, v172
	v_add_f32_e32 v46, v53, v46
	v_add_f32_e32 v53, v91, v249
	v_add_f32_e32 v46, v53, v46
	v_add_f32_e32 v53, v92, v246
	v_mul_f32_e32 v131, 0xbf1a4643, v72
	v_mul_f32_e32 v159, 0xbe8c1d8e, v72
	v_add_f32_e32 v72, v53, v46
	v_sub_f32_e32 v46, v133, v70
	v_add_f32_e32 v39, v39, v125
	v_sub_f32_e32 v38, v120, v38
	v_add_f32_e32 v46, v46, v0
	v_add_f32_e32 v39, v39, v1
	;; [unrolled: 1-line block ×17, first 2 shown]
	v_mul_f32_e32 v121, 0x3f3d2fb0, v56
	v_add_f32_e32 v1, v17, v1
	v_add_f32_e32 v0, v16, v0
	v_mul_f32_e32 v137, 0x3dbcf732, v56
	v_mul_f32_e32 v122, 0x3ee437d1, v61
	v_add_f32_e32 v41, v41, v127
	v_sub_f32_e32 v40, v121, v40
	v_add_f32_e32 v1, v19, v1
	v_add_f32_e32 v0, v18, v0
	v_mul_f32_e32 v142, 0xbf1a4643, v61
	v_mul_f32_e32 v126, 0x3dbcf732, v65
	v_sub_f32_e32 v53, v137, v71
	v_add_f32_e32 v39, v41, v39
	v_add_f32_e32 v41, v43, v130
	;; [unrolled: 1-line block ×3, first 2 shown]
	v_sub_f32_e32 v40, v122, v42
	v_add_f32_e32 v1, v21, v1
	v_add_f32_e32 v0, v20, v0
	v_mul_f32_e32 v147, 0xbf7ba420, v65
	v_add_f32_e32 v46, v53, v46
	v_sub_f32_e32 v53, v142, v73
	v_add_f32_e32 v39, v41, v39
	v_add_f32_e32 v41, v45, v134
	v_add_f32_e32 v38, v40, v38
	v_sub_f32_e32 v40, v126, v44
	v_add_f32_e32 v1, v23, v1
	v_add_f32_e32 v0, v22, v0
	;; [unrolled: 4-line block ×4, first 2 shown]
	v_mul_f32_e32 v135, 0xbf59a7d5, v84
	v_add_f32_e32 v46, v53, v46
	v_sub_f32_e32 v53, v154, v75
	v_add_f32_e32 v39, v41, v39
	v_add_f32_e32 v41, v58, v143
	;; [unrolled: 1-line block ×3, first 2 shown]
	v_sub_f32_e32 v40, v131, v57
	v_add_f32_e32 v1, v27, v1
	v_add_f32_e32 v0, v26, v0
	v_mul_f32_e32 v165, 0x3ee437d1, v84
	v_add_f32_e32 v46, v53, v46
	v_sub_f32_e32 v53, v159, v78
	v_add_f32_e32 v39, v41, v39
	v_add_f32_e32 v41, v62, v149
	v_add_f32_e32 v38, v40, v38
	v_sub_f32_e32 v40, v135, v60
	v_add_f32_e32 v1, v29, v1
	v_add_f32_e32 v0, v28, v0
	v_add_f32_e32 v46, v53, v46
	v_sub_f32_e32 v53, v165, v81
	v_add_f32_e32 v39, v41, v39
	v_add_f32_e32 v41, v66, v140
	v_add_f32_e32 v38, v40, v38
	v_sub_f32_e32 v40, v253, v64
	v_add_f32_e32 v1, v31, v1
	v_add_f32_e32 v0, v30, v0
	v_mul_lo_u16_e32 v2, 17, v196
	v_add_f32_e32 v46, v53, v46
	v_sub_f32_e32 v53, v166, v83
	v_add_f32_e32 v39, v41, v39
	v_add_f32_e32 v38, v40, v38
	;; [unrolled: 1-line block ×4, first 2 shown]
	v_lshlrev_b32_e32 v2, 3, v2
	v_add_f32_e32 v123, v123, v86
	v_add_f32_e32 v71, v53, v46
	ds_write2_b64 v2, v[0:1], v[38:39] offset1:1
	ds_write2_b64 v2, v[71:72], v[101:102] offset0:2 offset1:3
	ds_write2_b64 v2, v[93:94], v[68:69] offset0:4 offset1:5
	;; [unrolled: 1-line block ×5, first 2 shown]
	v_mov_b32_e32 v180, v197
	ds_write2_b64 v2, v[34:35], v[54:55] offset0:12 offset1:13
	ds_write2_b64 v2, v[48:49], v[50:51] offset0:14 offset1:15
	ds_write_b64 v2, v[89:90] offset:128
.LBB0_7:
	s_or_b64 exec, exec, s[4:5]
	s_load_dwordx4 s[4:7], s[0:1], 0x0
	s_movk_i32 s0, 0xf1
	v_mul_lo_u16_sdwa v0, v196, s0 dst_sel:DWORD dst_unused:UNUSED_PAD src0_sel:BYTE_0 src1_sel:DWORD
	v_lshrrev_b16_e32 v0, 12, v0
	v_mul_lo_u16_e32 v1, 17, v0
	v_sub_u16_e32 v1, v196, v1
	v_and_b32_e32 v1, 0xff, v1
	v_mul_u32_u24_e32 v2, 12, v1
	v_lshlrev_b32_e32 v2, 3, v2
	s_waitcnt lgkmcnt(0)
	s_barrier
	global_load_dwordx4 v[28:31], v2, s[2:3]
	global_load_dwordx4 v[20:23], v2, s[2:3] offset:16
	global_load_dwordx4 v[16:19], v2, s[2:3] offset:32
	;; [unrolled: 1-line block ×5, first 2 shown]
	ds_read2_b64 v[2:5], v98 offset1:136
	v_add_u32_e32 v6, 0x800, v98
	v_add_u32_e32 v36, 0x1000, v98
	;; [unrolled: 1-line block ×5, first 2 shown]
	ds_read_b64 v[10:11], v98 offset:13056
	ds_read2_b64 v[6:9], v6 offset0:16 offset1:152
	ds_read2_b64 v[36:39], v36 offset0:32 offset1:168
	;; [unrolled: 1-line block ×5, first 2 shown]
	s_mov_b32 s8, 0x3f62ad3f
	s_mov_b32 s1, 0x3f116cb1
	;; [unrolled: 1-line block ×6, first 2 shown]
	v_mul_u32_u24_e32 v0, 0xdd, v0
	v_add_lshl_u32 v99, v0, v1, 3
	v_add_u32_e32 v100, 0xd00, v98
	v_add_u32_e32 v96, 0x1b00, v98
	;; [unrolled: 1-line block ×3, first 2 shown]
	s_waitcnt vmcnt(0) lgkmcnt(0)
	s_barrier
	v_mul_f32_e32 v52, v5, v29
	v_mul_f32_e32 v60, v7, v31
	v_fma_f32 v52, v4, v28, -v52
	v_mul_f32_e32 v53, v4, v29
	v_mul_f32_e32 v61, v6, v31
	;; [unrolled: 1-line block ×3, first 2 shown]
	v_fma_f32 v6, v6, v30, -v60
	v_add_f32_e32 v4, v2, v52
	v_mul_f32_e32 v64, v37, v23
	v_fmac_f32_e32 v53, v5, v28
	v_fmac_f32_e32 v61, v7, v30
	v_fma_f32 v7, v8, v20, -v62
	v_add_f32_e32 v4, v4, v6
	v_mul_f32_e32 v63, v8, v21
	v_mul_f32_e32 v66, v39, v17
	v_fma_f32 v8, v36, v22, -v64
	v_add_f32_e32 v5, v3, v53
	v_add_f32_e32 v4, v4, v7
	v_mul_f32_e32 v65, v36, v23
	v_mul_f32_e32 v68, v41, v19
	v_fmac_f32_e32 v63, v9, v20
	v_fma_f32 v9, v38, v16, -v66
	v_add_f32_e32 v5, v5, v61
	v_add_f32_e32 v4, v4, v8
	v_mul_f32_e32 v67, v38, v17
	v_mul_f32_e32 v70, v43, v13
	v_fmac_f32_e32 v65, v37, v22
	v_fma_f32 v36, v40, v18, -v68
	v_add_f32_e32 v5, v5, v63
	v_add_f32_e32 v4, v4, v9
	v_mul_f32_e32 v69, v40, v19
	v_mul_f32_e32 v72, v45, v15
	v_fmac_f32_e32 v67, v39, v16
	v_fma_f32 v37, v42, v12, -v70
	v_add_f32_e32 v5, v5, v65
	v_add_f32_e32 v4, v4, v36
	v_mul_f32_e32 v71, v42, v13
	v_mul_f32_e32 v74, v47, v33
	v_fmac_f32_e32 v69, v41, v18
	v_fma_f32 v38, v44, v14, -v72
	v_add_f32_e32 v5, v5, v67
	v_add_f32_e32 v4, v4, v37
	v_mul_f32_e32 v73, v44, v15
	v_mul_f32_e32 v76, v57, v35
	v_fmac_f32_e32 v71, v43, v12
	v_fma_f32 v39, v46, v32, -v74
	v_add_f32_e32 v5, v5, v69
	v_add_f32_e32 v4, v4, v38
	v_mul_f32_e32 v75, v46, v33
	v_mul_f32_e32 v78, v59, v25
	v_fmac_f32_e32 v73, v45, v14
	v_fma_f32 v40, v56, v34, -v76
	v_add_f32_e32 v5, v5, v71
	v_add_f32_e32 v4, v4, v39
	v_mul_f32_e32 v77, v56, v35
	v_mul_f32_e32 v80, v11, v27
	v_fmac_f32_e32 v75, v47, v32
	v_fma_f32 v41, v58, v24, -v78
	v_add_f32_e32 v5, v5, v73
	v_add_f32_e32 v4, v4, v40
	v_mul_f32_e32 v79, v58, v25
	v_mul_f32_e32 v81, v10, v27
	v_fmac_f32_e32 v77, v57, v34
	v_fma_f32 v10, v10, v26, -v80
	v_add_f32_e32 v5, v5, v75
	v_add_f32_e32 v4, v4, v41
	v_fmac_f32_e32 v79, v59, v24
	v_fmac_f32_e32 v81, v11, v26
	v_add_f32_e32 v5, v5, v77
	v_add_f32_e32 v4, v4, v10
	;; [unrolled: 1-line block ×3, first 2 shown]
	v_sub_f32_e32 v10, v52, v10
	v_add_f32_e32 v5, v5, v79
	v_mul_f32_e32 v46, 0xbeedf032, v10
	v_mul_f32_e32 v56, 0xbf52af12, v10
	;; [unrolled: 1-line block ×6, first 2 shown]
	v_add_f32_e32 v5, v5, v81
	v_add_f32_e32 v42, v53, v81
	v_sub_f32_e32 v43, v53, v81
	v_mov_b32_e32 v47, v46
	v_mov_b32_e32 v57, v56
	;; [unrolled: 1-line block ×6, first 2 shown]
	v_fmac_f32_e32 v47, 0x3f62ad3f, v42
	v_fma_f32 v46, v42, s8, -v46
	v_fmac_f32_e32 v57, 0x3f116cb1, v42
	v_fma_f32 v56, v42, s1, -v56
	;; [unrolled: 2-line block ×6, first 2 shown]
	v_mul_f32_e32 v44, 0xbeedf032, v43
	v_add_f32_e32 v47, v3, v47
	v_add_f32_e32 v46, v3, v46
	v_mul_f32_e32 v52, 0xbf52af12, v43
	v_add_f32_e32 v57, v3, v57
	v_add_f32_e32 v56, v3, v56
	;; [unrolled: 3-line block ×6, first 2 shown]
	v_add_f32_e32 v10, v6, v41
	v_sub_f32_e32 v6, v6, v41
	v_sub_f32_e32 v41, v61, v79
	v_fma_f32 v45, v11, s8, -v44
	v_fmac_f32_e32 v44, 0x3f62ad3f, v11
	v_fma_f32 v53, v11, s1, -v52
	v_fmac_f32_e32 v52, 0x3f116cb1, v11
	;; [unrolled: 2-line block ×6, first 2 shown]
	v_mul_f32_e32 v42, 0xbf52af12, v41
	v_add_f32_e32 v45, v2, v45
	v_add_f32_e32 v44, v2, v44
	;; [unrolled: 1-line block ×12, first 2 shown]
	v_fma_f32 v43, v10, s1, -v42
	v_add_f32_e32 v11, v61, v79
	v_add_f32_e32 v43, v43, v45
	v_mul_f32_e32 v45, 0xbf52af12, v6
	v_fmac_f32_e32 v42, 0x3f116cb1, v10
	v_mov_b32_e32 v61, v45
	v_add_f32_e32 v42, v42, v44
	v_fma_f32 v44, v11, s1, -v45
	v_mul_f32_e32 v45, 0xbf6f5d39, v41
	v_add_f32_e32 v44, v44, v46
	v_fma_f32 v46, v10, s9, -v45
	v_fmac_f32_e32 v61, 0x3f116cb1, v11
	v_add_f32_e32 v46, v46, v53
	v_mul_f32_e32 v53, 0xbf6f5d39, v6
	v_fmac_f32_e32 v45, 0xbeb58ec6, v10
	v_add_f32_e32 v47, v61, v47
	v_mov_b32_e32 v61, v53
	v_add_f32_e32 v45, v45, v52
	v_fma_f32 v52, v11, s9, -v53
	v_mul_f32_e32 v53, 0xbe750f2a, v41
	v_add_f32_e32 v52, v52, v56
	v_fma_f32 v56, v10, s11, -v53
	v_fmac_f32_e32 v61, 0xbeb58ec6, v11
	v_add_f32_e32 v56, v56, v59
	v_mul_f32_e32 v59, 0xbe750f2a, v6
	v_add_f32_e32 v57, v61, v57
	v_mov_b32_e32 v61, v59
	v_fmac_f32_e32 v53, 0xbf788fa5, v10
	v_fmac_f32_e32 v61, 0xbf788fa5, v11
	v_add_f32_e32 v53, v53, v58
	v_fma_f32 v58, v11, s11, -v59
	v_mul_f32_e32 v59, 0x3f29c268, v41
	v_add_f32_e32 v61, v61, v62
	v_add_f32_e32 v58, v58, v60
	v_fma_f32 v60, v10, s10, -v59
	v_mul_f32_e32 v62, 0x3f29c268, v6
	v_add_f32_e32 v60, v60, v66
	v_mov_b32_e32 v66, v62
	v_fmac_f32_e32 v59, 0xbf3f9e67, v10
	v_fmac_f32_e32 v66, 0xbf3f9e67, v11
	v_add_f32_e32 v59, v59, v64
	v_fma_f32 v62, v11, s10, -v62
	v_mul_f32_e32 v64, 0x3f7e222b, v41
	v_add_f32_e32 v66, v66, v70
	v_add_f32_e32 v62, v62, v68
	v_fma_f32 v68, v10, s0, -v64
	v_mul_f32_e32 v70, 0x3f7e222b, v6
	v_add_f32_e32 v68, v68, v74
	v_mov_b32_e32 v74, v70
	v_fma_f32 v70, v11, s0, -v70
	v_mul_f32_e32 v6, 0x3eedf032, v6
	v_add_f32_e32 v70, v70, v76
	v_mov_b32_e32 v76, v6
	v_fmac_f32_e32 v74, 0x3df6dbef, v11
	v_fmac_f32_e32 v64, 0x3df6dbef, v10
	v_mul_f32_e32 v41, 0x3eedf032, v41
	v_fmac_f32_e32 v76, 0x3f62ad3f, v11
	v_fma_f32 v6, v11, s8, -v6
	v_sub_f32_e32 v11, v63, v77
	v_add_f32_e32 v64, v64, v72
	v_fma_f32 v72, v10, s8, -v41
	v_fmac_f32_e32 v41, 0x3f62ad3f, v10
	v_add_f32_e32 v3, v6, v3
	v_add_f32_e32 v6, v7, v40
	v_sub_f32_e32 v7, v7, v40
	v_mul_f32_e32 v40, 0xbf7e222b, v11
	v_add_f32_e32 v2, v41, v2
	v_fma_f32 v41, v6, s0, -v40
	v_add_f32_e32 v10, v63, v77
	v_add_f32_e32 v41, v41, v43
	v_mul_f32_e32 v43, 0xbf7e222b, v7
	v_fmac_f32_e32 v40, 0x3df6dbef, v6
	v_mov_b32_e32 v63, v43
	v_add_f32_e32 v40, v40, v42
	v_fma_f32 v42, v10, s0, -v43
	v_mul_f32_e32 v43, 0xbe750f2a, v11
	v_add_f32_e32 v42, v42, v44
	v_fma_f32 v44, v6, s11, -v43
	v_fmac_f32_e32 v63, 0x3df6dbef, v10
	v_add_f32_e32 v44, v44, v46
	v_mul_f32_e32 v46, 0xbe750f2a, v7
	v_fmac_f32_e32 v43, 0xbf788fa5, v6
	v_add_f32_e32 v47, v63, v47
	v_mov_b32_e32 v63, v46
	v_add_f32_e32 v43, v43, v45
	v_fma_f32 v45, v10, s11, -v46
	v_mul_f32_e32 v46, 0x3f6f5d39, v11
	v_add_f32_e32 v45, v45, v52
	v_fma_f32 v52, v6, s9, -v46
	v_fmac_f32_e32 v63, 0xbf788fa5, v10
	v_add_f32_e32 v52, v52, v56
	v_mul_f32_e32 v56, 0x3f6f5d39, v7
	v_fmac_f32_e32 v46, 0xbeb58ec6, v6
	v_add_f32_e32 v57, v63, v57
	v_mov_b32_e32 v63, v56
	v_add_f32_e32 v46, v46, v53
	v_fma_f32 v53, v10, s9, -v56
	v_mul_f32_e32 v56, 0x3eedf032, v11
	v_add_f32_e32 v53, v53, v58
	v_fma_f32 v58, v6, s8, -v56
	v_fmac_f32_e32 v63, 0xbeb58ec6, v10
	v_add_f32_e32 v58, v58, v60
	v_mul_f32_e32 v60, 0x3eedf032, v7
	v_add_f32_e32 v61, v63, v61
	v_mov_b32_e32 v63, v60
	v_fmac_f32_e32 v56, 0x3f62ad3f, v6
	v_fmac_f32_e32 v63, 0x3f62ad3f, v10
	v_add_f32_e32 v56, v56, v59
	v_fma_f32 v59, v10, s8, -v60
	v_mul_f32_e32 v60, 0xbf52af12, v11
	v_add_f32_e32 v63, v63, v66
	v_add_f32_e32 v59, v59, v62
	v_fma_f32 v62, v6, s1, -v60
	v_mul_f32_e32 v66, 0xbf52af12, v7
	v_fmac_f32_e32 v60, 0x3f116cb1, v6
	v_add_f32_e32 v60, v60, v64
	v_fma_f32 v64, v10, s1, -v66
	v_mul_f32_e32 v7, 0xbf29c268, v7
	v_add_f32_e32 v62, v62, v68
	v_mov_b32_e32 v68, v66
	v_add_f32_e32 v64, v64, v70
	v_mul_f32_e32 v11, 0xbf29c268, v11
	v_mov_b32_e32 v70, v7
	v_fmac_f32_e32 v68, 0x3f116cb1, v10
	v_fma_f32 v66, v6, s10, -v11
	v_fmac_f32_e32 v70, 0xbf3f9e67, v10
	v_fmac_f32_e32 v11, 0xbf3f9e67, v6
	v_fma_f32 v6, v10, s10, -v7
	v_sub_f32_e32 v10, v65, v75
	v_add_f32_e32 v2, v11, v2
	v_add_f32_e32 v3, v6, v3
	;; [unrolled: 1-line block ×3, first 2 shown]
	v_mul_f32_e32 v11, 0xbf6f5d39, v10
	v_sub_f32_e32 v8, v8, v39
	v_fma_f32 v39, v6, s9, -v11
	v_add_f32_e32 v7, v65, v75
	v_add_f32_e32 v39, v39, v41
	v_mul_f32_e32 v41, 0xbf6f5d39, v8
	v_fmac_f32_e32 v11, 0xbeb58ec6, v6
	v_mov_b32_e32 v65, v41
	v_add_f32_e32 v11, v11, v40
	v_fma_f32 v40, v7, s9, -v41
	v_mul_f32_e32 v41, 0x3f29c268, v10
	v_add_f32_e32 v40, v40, v42
	v_fma_f32 v42, v6, s10, -v41
	v_fmac_f32_e32 v65, 0xbeb58ec6, v7
	v_add_f32_e32 v42, v42, v44
	v_mul_f32_e32 v44, 0x3f29c268, v8
	v_fmac_f32_e32 v41, 0xbf3f9e67, v6
	v_add_f32_e32 v47, v65, v47
	v_mov_b32_e32 v65, v44
	v_add_f32_e32 v41, v41, v43
	v_fma_f32 v43, v7, s10, -v44
	v_mul_f32_e32 v44, 0x3eedf032, v10
	v_add_f32_e32 v43, v43, v45
	v_fma_f32 v45, v6, s8, -v44
	v_fmac_f32_e32 v65, 0xbf3f9e67, v7
	v_add_f32_e32 v45, v45, v52
	v_mul_f32_e32 v52, 0x3eedf032, v8
	v_fmac_f32_e32 v44, 0x3f62ad3f, v6
	v_add_f32_e32 v57, v65, v57
	;; [unrolled: 11-line block ×3, first 2 shown]
	v_mov_b32_e32 v65, v58
	v_add_f32_e32 v52, v52, v56
	v_fma_f32 v56, v7, s0, -v58
	v_mul_f32_e32 v58, 0x3e750f2a, v10
	v_add_f32_e32 v56, v56, v59
	v_fma_f32 v59, v6, s11, -v58
	v_fmac_f32_e32 v65, 0x3df6dbef, v7
	v_add_f32_e32 v59, v59, v62
	v_mul_f32_e32 v62, 0x3e750f2a, v8
	v_fmac_f32_e32 v58, 0xbf788fa5, v6
	v_mul_f32_e32 v10, 0x3f52af12, v10
	v_mul_f32_e32 v8, 0x3f52af12, v8
	v_add_f32_e32 v63, v65, v63
	v_mov_b32_e32 v65, v62
	v_add_f32_e32 v58, v58, v60
	v_fma_f32 v60, v7, s11, -v62
	v_fma_f32 v62, v6, s1, -v10
	v_fmac_f32_e32 v10, 0x3f116cb1, v6
	v_fma_f32 v6, v7, s1, -v8
	v_add_f32_e32 v60, v60, v64
	v_mov_b32_e32 v64, v8
	v_add_f32_e32 v3, v6, v3
	v_add_f32_e32 v6, v9, v38
	v_sub_f32_e32 v8, v9, v38
	v_sub_f32_e32 v9, v67, v73
	v_add_f32_e32 v2, v10, v2
	v_mul_f32_e32 v10, 0xbf29c268, v9
	v_add_f32_e32 v72, v72, v80
	v_fma_f32 v38, v6, s10, -v10
	v_add_f32_e32 v66, v66, v72
	v_fmac_f32_e32 v65, 0xbf788fa5, v7
	v_fmac_f32_e32 v64, 0x3f116cb1, v7
	v_add_f32_e32 v7, v67, v73
	v_add_f32_e32 v38, v38, v39
	v_mul_f32_e32 v39, 0xbf29c268, v8
	v_fmac_f32_e32 v10, 0xbf3f9e67, v6
	v_add_f32_e32 v62, v62, v66
	v_mov_b32_e32 v66, v39
	v_add_f32_e32 v10, v10, v11
	v_fma_f32 v11, v7, s10, -v39
	v_mul_f32_e32 v39, 0x3f7e222b, v9
	v_add_f32_e32 v11, v11, v40
	v_fma_f32 v40, v6, s0, -v39
	v_fmac_f32_e32 v66, 0xbf3f9e67, v7
	v_add_f32_e32 v40, v40, v42
	v_mul_f32_e32 v42, 0x3f7e222b, v8
	v_fmac_f32_e32 v39, 0x3df6dbef, v6
	v_add_f32_e32 v47, v66, v47
	v_mov_b32_e32 v66, v42
	v_add_f32_e32 v39, v39, v41
	v_fma_f32 v41, v7, s0, -v42
	v_mul_f32_e32 v42, 0xbf52af12, v9
	v_add_f32_e32 v41, v41, v43
	v_fma_f32 v43, v6, s1, -v42
	v_fmac_f32_e32 v66, 0x3df6dbef, v7
	;; [unrolled: 11-line block ×3, first 2 shown]
	v_add_f32_e32 v46, v46, v53
	v_mul_f32_e32 v53, 0x3e750f2a, v8
	v_add_f32_e32 v61, v66, v61
	v_mov_b32_e32 v66, v53
	v_fmac_f32_e32 v45, 0xbf788fa5, v6
	v_fmac_f32_e32 v66, 0xbf788fa5, v7
	v_add_f32_e32 v45, v45, v52
	v_fma_f32 v52, v7, s11, -v53
	v_add_f32_e32 v63, v66, v63
	v_add_f32_e32 v66, v52, v56
	v_mul_f32_e32 v52, 0x3eedf032, v9
	v_add_f32_e32 v74, v74, v78
	v_fma_f32 v53, v6, s8, -v52
	v_add_f32_e32 v68, v68, v74
	v_add_f32_e32 v67, v53, v59
	v_mul_f32_e32 v53, 0x3eedf032, v8
	v_fmac_f32_e32 v52, 0x3f62ad3f, v6
	v_add_f32_e32 v76, v76, v81
	v_add_f32_e32 v65, v65, v68
	;; [unrolled: 1-line block ×3, first 2 shown]
	v_fma_f32 v52, v7, s8, -v53
	v_mul_f32_e32 v9, 0xbf6f5d39, v9
	v_add_f32_e32 v70, v70, v76
	v_add_f32_e32 v60, v52, v60
	v_fma_f32 v52, v6, s9, -v9
	v_mul_f32_e32 v8, 0xbf6f5d39, v8
	v_fmac_f32_e32 v9, 0xbeb58ec6, v6
	v_add_f32_e32 v78, v69, v71
	v_sub_f32_e32 v69, v69, v71
	v_add_f32_e32 v64, v64, v70
	v_mov_b32_e32 v56, v53
	v_add_f32_e32 v62, v52, v62
	v_mov_b32_e32 v52, v8
	v_add_f32_e32 v70, v9, v2
	v_fma_f32 v2, v7, s9, -v8
	v_add_f32_e32 v77, v36, v37
	v_sub_f32_e32 v79, v36, v37
	v_mul_f32_e32 v6, 0xbe750f2a, v69
	v_fmac_f32_e32 v56, 0x3f62ad3f, v7
	v_fmac_f32_e32 v52, 0xbeb58ec6, v7
	v_add_f32_e32 v76, v2, v3
	v_fma_f32 v2, v77, s11, -v6
	v_mul_f32_e32 v7, 0xbe750f2a, v79
	v_fmac_f32_e32 v6, 0xbf788fa5, v77
	v_add_f32_e32 v64, v52, v64
	v_add_f32_e32 v52, v6, v10
	v_fma_f32 v6, v78, s11, -v7
	v_mul_f32_e32 v8, 0x3eedf032, v69
	v_add_f32_e32 v53, v6, v11
	v_fma_f32 v6, v77, s8, -v8
	v_mul_f32_e32 v9, 0x3eedf032, v79
	v_fmac_f32_e32 v8, 0x3f62ad3f, v77
	v_add_f32_e32 v58, v8, v39
	v_fma_f32 v8, v78, s8, -v9
	v_mul_f32_e32 v10, 0xbf29c268, v69
	v_mov_b32_e32 v3, v7
	v_mov_b32_e32 v7, v9
	v_add_f32_e32 v59, v8, v41
	v_fma_f32 v8, v77, s10, -v10
	v_mul_f32_e32 v11, 0xbf29c268, v79
	v_fmac_f32_e32 v10, 0xbf3f9e67, v77
	v_add_f32_e32 v65, v56, v65
	v_fmac_f32_e32 v7, 0x3f62ad3f, v78
	v_add_f32_e32 v56, v10, v42
	v_fma_f32 v10, v78, s10, -v11
	v_mul_f32_e32 v36, 0x3f52af12, v69
	v_add_f32_e32 v7, v7, v57
	v_add_f32_e32 v57, v10, v44
	v_fma_f32 v10, v77, s1, -v36
	v_mul_f32_e32 v37, 0x3f52af12, v79
	v_fmac_f32_e32 v36, 0x3f116cb1, v77
	v_add_f32_e32 v2, v2, v38
	v_add_f32_e32 v74, v36, v45
	v_fma_f32 v36, v78, s1, -v37
	v_mul_f32_e32 v38, 0xbf6f5d39, v69
	v_add_f32_e32 v75, v36, v66
	v_fma_f32 v36, v77, s9, -v38
	v_mul_f32_e32 v39, 0xbf6f5d39, v79
	v_fmac_f32_e32 v38, 0xbeb58ec6, v77
	v_mul_f32_e32 v41, 0x3f7e222b, v79
	v_fmac_f32_e32 v3, 0xbf788fa5, v78
	v_add_f32_e32 v6, v6, v40
	v_mov_b32_e32 v9, v11
	v_mov_b32_e32 v11, v37
	;; [unrolled: 1-line block ×3, first 2 shown]
	v_add_f32_e32 v72, v38, v68
	v_fma_f32 v38, v78, s9, -v39
	v_mul_f32_e32 v40, 0x3f7e222b, v69
	v_mov_b32_e32 v39, v41
	v_add_f32_e32 v3, v3, v47
	v_fmac_f32_e32 v9, 0xbf3f9e67, v78
	v_fmac_f32_e32 v11, 0x3f116cb1, v78
	;; [unrolled: 1-line block ×3, first 2 shown]
	v_add_f32_e32 v73, v38, v60
	v_fma_f32 v38, v77, s0, -v40
	v_fmac_f32_e32 v39, 0x3df6dbef, v78
	v_fmac_f32_e32 v40, 0x3df6dbef, v77
	v_fma_f32 v41, v78, s0, -v41
	v_add_f32_e32 v8, v8, v43
	v_add_f32_e32 v9, v9, v61
	v_add_f32_e32 v10, v10, v46
	v_add_f32_e32 v11, v11, v63
	v_add_f32_e32 v36, v36, v67
	v_add_f32_e32 v37, v37, v65
	v_add_f32_e32 v38, v38, v62
	v_add_f32_e32 v39, v39, v64
	v_add_f32_e32 v40, v40, v70
	v_add_f32_e32 v41, v41, v76
	ds_write2_b64 v99, v[4:5], v[2:3] offset1:17
	ds_write2_b64 v99, v[6:7], v[8:9] offset0:34 offset1:51
	ds_write2_b64 v99, v[10:11], v[36:37] offset0:68 offset1:85
	;; [unrolled: 1-line block ×5, first 2 shown]
	ds_write_b64 v99, v[52:53] offset:1632
	s_waitcnt lgkmcnt(0)
	s_barrier
	ds_read2_b64 v[60:63], v98 offset1:221
	ds_read2_b64 v[64:67], v100 offset0:26 offset1:247
	ds_read2_b64 v[68:71], v96 offset0:20 offset1:241
	;; [unrolled: 1-line block ×3, first 2 shown]
	s_movk_i32 s0, 0x55
	v_cmp_gt_u16_e64 s[0:1], s0, v196
	s_and_saveexec_b64 s[8:9], s[0:1]
	s_cbranch_execz .LBB0_9
; %bb.8:
	v_add_u32_e32 v0, 0x400, v98
	ds_read2_b64 v[72:75], v0 offset0:8 offset1:229
	v_add_u32_e32 v0, 0x1200, v98
	ds_read2_b64 v[56:59], v0 offset0:2 offset1:223
	;; [unrolled: 2-line block ×4, first 2 shown]
.LBB0_9:
	s_or_b64 exec, exec, s[8:9]
	v_mad_u64_u32 v[0:1], s[8:9], v196, 56, s[2:3]
	v_add_u32_e32 v2, 0x88, v196
	v_add_u32_e32 v3, 0xffffffab, v196
	v_cndmask_b32_e64 v2, v3, v2, s[0:1]
	global_load_dwordx4 v[40:43], v[0:1], off offset:1632
	global_load_dwordx4 v[36:39], v[0:1], off offset:1648
	global_load_dwordx2 v[93:94], v[0:1], off offset:1680
	global_load_dwordx4 v[44:47], v[0:1], off offset:1664
	v_mul_i32_i24_e32 v0, 56, v2
	v_mov_b32_e32 v4, s3
	v_mul_hi_i32_i24_e32 v3, 56, v2
	v_add_co_u32_e64 v80, s[2:3], s2, v0
	v_addc_co_u32_e64 v81, s[2:3], v4, v3, s[2:3]
	global_load_dwordx4 v[8:11], v[80:81], off offset:1632
	global_load_dwordx4 v[0:3], v[80:81], off offset:1648
	;; [unrolled: 1-line block ×3, first 2 shown]
	global_load_dwordx2 v[91:92], v[80:81], off offset:1680
	s_waitcnt vmcnt(7) lgkmcnt(3)
	v_mul_f32_e32 v80, v63, v41
	v_mul_f32_e32 v81, v62, v41
	s_waitcnt lgkmcnt(2)
	v_mul_f32_e32 v82, v65, v43
	v_mul_f32_e32 v83, v64, v43
	s_waitcnt vmcnt(6)
	v_mul_f32_e32 v84, v67, v37
	s_waitcnt lgkmcnt(1)
	v_mul_f32_e32 v86, v69, v39
	v_mul_f32_e32 v87, v68, v39
	s_waitcnt vmcnt(4)
	v_mul_f32_e32 v101, v71, v45
	s_waitcnt lgkmcnt(0)
	v_mul_f32_e32 v104, v76, v47
	v_mul_f32_e32 v105, v79, v94
	;; [unrolled: 1-line block ×6, first 2 shown]
	s_waitcnt vmcnt(3)
	v_mul_f32_e32 v108, v74, v9
	v_mul_f32_e32 v109, v57, v11
	s_waitcnt vmcnt(1)
	v_mul_f32_e32 v116, v54, v5
	v_mul_f32_e32 v118, v48, v7
	;; [unrolled: 3-line block ×3, first 2 shown]
	v_fma_f32 v62, v62, v40, -v80
	v_fmac_f32_e32 v81, v63, v40
	v_fma_f32 v63, v64, v42, -v82
	v_fmac_f32_e32 v83, v65, v42
	v_fma_f32 v64, v66, v36, -v84
	v_fma_f32 v65, v68, v38, -v86
	v_fmac_f32_e32 v87, v69, v38
	v_fma_f32 v66, v70, v44, -v101
	v_fmac_f32_e32 v104, v77, v46
	v_fma_f32 v68, v78, v93, -v105
	v_mul_f32_e32 v107, v75, v9
	v_mul_f32_e32 v110, v56, v11
	v_mul_f32_e32 v112, v58, v1
	v_mul_f32_e32 v114, v52, v3
	v_mul_f32_e32 v115, v55, v5
	v_mul_f32_e32 v117, v49, v7
	v_fmac_f32_e32 v85, v67, v36
	v_fmac_f32_e32 v102, v71, v44
	v_fma_f32 v67, v76, v46, -v103
	v_fmac_f32_e32 v106, v79, v93
	v_fmac_f32_e32 v108, v75, v8
	v_fma_f32 v75, v56, v10, -v109
	;; [unrolled: 3-line block ×3, first 2 shown]
	v_fmac_f32_e32 v120, v51, v91
	v_sub_f32_e32 v50, v60, v65
	v_sub_f32_e32 v51, v61, v87
	;; [unrolled: 1-line block ×5, first 2 shown]
	v_mul_f32_e32 v111, v59, v1
	v_mul_f32_e32 v113, v53, v3
	v_fmac_f32_e32 v110, v57, v10
	v_fmac_f32_e32 v112, v59, v0
	;; [unrolled: 1-line block ×3, first 2 shown]
	v_fma_f32 v53, v54, v4, -v115
	v_sub_f32_e32 v54, v63, v67
	v_sub_f32_e32 v57, v81, v102
	v_fma_f32 v59, v61, 2.0, -v51
	v_fma_f32 v61, v83, 2.0, -v55
	;; [unrolled: 1-line block ×3, first 2 shown]
	v_sub_f32_e32 v66, v85, v106
	v_fma_f32 v64, v64, 2.0, -v65
	v_sub_f32_e32 v55, v50, v55
	v_fma_f32 v76, v58, v0, -v111
	v_fma_f32 v58, v60, 2.0, -v50
	v_fma_f32 v60, v63, 2.0, -v54
	;; [unrolled: 1-line block ×4, first 2 shown]
	v_add_f32_e32 v54, v51, v54
	v_fma_f32 v50, v50, 2.0, -v55
	v_sub_f32_e32 v64, v62, v64
	v_sub_f32_e32 v66, v56, v66
	;; [unrolled: 1-line block ×3, first 2 shown]
	v_fma_f32 v51, v51, 2.0, -v54
	v_sub_f32_e32 v67, v63, v67
	v_fma_f32 v60, v62, 2.0, -v64
	v_add_f32_e32 v77, v57, v65
	v_fma_f32 v65, v56, 2.0, -v66
	v_mov_b32_e32 v62, v50
	v_sub_f32_e32 v71, v59, v61
	v_fma_f32 v61, v63, 2.0, -v67
	v_fma_f32 v68, v57, 2.0, -v77
	v_fmac_f32_e32 v62, 0xbf3504f3, v65
	v_mov_b32_e32 v63, v51
	v_fmac_f32_e32 v63, 0xbf3504f3, v68
	v_fmac_f32_e32 v62, 0xbf3504f3, v68
	v_sub_f32_e32 v68, v70, v67
	v_fma_f32 v58, v58, 2.0, -v70
	v_add_f32_e32 v69, v71, v64
	v_fma_f32 v64, v70, 2.0, -v68
	v_mov_b32_e32 v70, v55
	v_fma_f32 v59, v59, 2.0, -v71
	v_fmac_f32_e32 v63, 0x3f3504f3, v65
	v_fma_f32 v65, v71, 2.0, -v69
	v_fmac_f32_e32 v70, 0x3f3504f3, v66
	v_mov_b32_e32 v71, v54
	v_fma_f32 v74, v74, v8, -v107
	v_fma_f32 v52, v52, v2, -v113
	;; [unrolled: 1-line block ×3, first 2 shown]
	v_sub_f32_e32 v60, v58, v60
	v_sub_f32_e32 v61, v59, v61
	v_fmac_f32_e32 v71, 0x3f3504f3, v77
	v_fmac_f32_e32 v70, 0xbf3504f3, v77
	v_fma_f32 v56, v58, 2.0, -v60
	v_fma_f32 v57, v59, 2.0, -v61
	;; [unrolled: 1-line block ×4, first 2 shown]
	v_fmac_f32_e32 v71, 0x3f3504f3, v66
	v_fma_f32 v66, v55, 2.0, -v70
	v_sub_f32_e32 v50, v72, v52
	v_sub_f32_e32 v51, v73, v114
	;; [unrolled: 1-line block ×6, first 2 shown]
	v_fma_f32 v67, v54, 2.0, -v71
	v_fma_f32 v52, v72, 2.0, -v50
	;; [unrolled: 1-line block ×5, first 2 shown]
	v_sub_f32_e32 v75, v108, v116
	v_fma_f32 v74, v74, 2.0, -v53
	v_sub_f32_e32 v78, v112, v120
	v_fma_f32 v76, v76, 2.0, -v49
	v_sub_f32_e32 v55, v50, v55
	v_add_f32_e32 v48, v51, v48
	v_fma_f32 v77, v108, 2.0, -v75
	v_fma_f32 v79, v112, 2.0, -v78
	;; [unrolled: 1-line block ×4, first 2 shown]
	v_sub_f32_e32 v82, v74, v76
	v_sub_f32_e32 v101, v53, v78
	v_add_f32_e32 v49, v75, v49
	v_sub_f32_e32 v80, v52, v72
	v_sub_f32_e32 v81, v54, v73
	;; [unrolled: 1-line block ×3, first 2 shown]
	v_fma_f32 v72, v74, 2.0, -v82
	v_fma_f32 v53, v53, 2.0, -v101
	;; [unrolled: 1-line block ×3, first 2 shown]
	v_mov_b32_e32 v78, v50
	v_mov_b32_e32 v79, v51
	;; [unrolled: 1-line block ×4, first 2 shown]
	v_fma_f32 v52, v52, 2.0, -v80
	v_fma_f32 v54, v54, 2.0, -v81
	;; [unrolled: 1-line block ×3, first 2 shown]
	v_fmac_f32_e32 v78, 0xbf3504f3, v53
	v_fmac_f32_e32 v79, 0xbf3504f3, v74
	;; [unrolled: 1-line block ×4, first 2 shown]
	v_sub_f32_e32 v76, v52, v72
	v_sub_f32_e32 v77, v54, v73
	v_fmac_f32_e32 v78, 0xbf3504f3, v74
	v_fmac_f32_e32 v79, 0x3f3504f3, v53
	v_sub_f32_e32 v84, v80, v83
	v_add_f32_e32 v85, v81, v82
	v_fmac_f32_e32 v86, 0xbf3504f3, v49
	v_fmac_f32_e32 v87, 0x3f3504f3, v101
	v_fma_f32 v72, v52, 2.0, -v76
	v_fma_f32 v73, v54, 2.0, -v77
	;; [unrolled: 1-line block ×8, first 2 shown]
	ds_write2_b64 v98, v[56:57], v[58:59] offset1:221
	ds_write2_b64 v100, v[64:65], v[66:67] offset0:26 offset1:247
	ds_write2_b64 v96, v[60:61], v[62:63] offset0:20 offset1:241
	;; [unrolled: 1-line block ×3, first 2 shown]
	s_and_saveexec_b64 s[2:3], s[0:1]
	s_cbranch_execz .LBB0_11
; %bb.10:
	v_add_u32_e32 v48, 0x400, v98
	ds_write2_b64 v48, v[72:73], v[74:75] offset0:8 offset1:229
	v_add_u32_e32 v48, 0x1200, v98
	ds_write2_b64 v48, v[80:81], v[82:83] offset0:2 offset1:223
	;; [unrolled: 2-line block ×4, first 2 shown]
.LBB0_11:
	s_or_b64 exec, exec, s[2:3]
	s_waitcnt lgkmcnt(0)
	s_barrier
	s_and_saveexec_b64 s[8:9], vcc
	s_cbranch_execz .LBB0_13
; %bb.12:
	s_add_u32 s10, s12, 0x3740
	s_addc_u32 s11, s13, 0
	global_load_dwordx2 v[48:49], v98, s[10:11]
	v_mov_b32_e32 v50, s11
	v_add_co_u32_e64 v54, s[2:3], s10, v98
	s_movk_i32 s16, 0x1000
	v_addc_co_u32_e64 v55, s[2:3], 0, v50, s[2:3]
	v_add_co_u32_e64 v50, s[2:3], s16, v54
	global_load_dwordx2 v[95:96], v98, s[10:11] offset:832
	global_load_dwordx2 v[112:113], v98, s[10:11] offset:1664
	;; [unrolled: 1-line block ×4, first 2 shown]
	v_addc_co_u32_e64 v51, s[2:3], 0, v55, s[2:3]
	global_load_dwordx2 v[118:119], v[50:51], off offset:64
	global_load_dwordx2 v[120:121], v[50:51], off offset:896
	;; [unrolled: 1-line block ×5, first 2 shown]
	s_movk_i32 s2, 0x2000
	v_add_co_u32_e64 v50, s[2:3], s2, v54
	v_addc_co_u32_e64 v51, s[2:3], 0, v55, s[2:3]
	global_load_dwordx2 v[128:129], v[50:51], off offset:128
	global_load_dwordx2 v[130:131], v[50:51], off offset:960
	;; [unrolled: 1-line block ×5, first 2 shown]
	s_movk_i32 s2, 0x3000
	v_add_co_u32_e64 v50, s[2:3], s2, v54
	v_addc_co_u32_e64 v51, s[2:3], 0, v55, s[2:3]
	ds_read_b64 v[52:53], v98
	v_or_b32_e32 v100, 0x3400, v98
	global_load_dwordx2 v[138:139], v[50:51], off offset:192
	global_load_dwordx2 v[140:141], v100, s[10:11]
	v_add_u32_e32 v144, 0x800, v98
	v_add_u32_e32 v145, 0x1000, v98
	;; [unrolled: 1-line block ×4, first 2 shown]
	s_waitcnt vmcnt(16) lgkmcnt(0)
	v_mul_f32_e32 v51, v53, v49
	v_mul_f32_e32 v50, v52, v49
	v_fma_f32 v49, v52, v48, -v51
	v_fmac_f32_e32 v50, v53, v48
	ds_write_b64 v98, v[49:50]
	ds_read2_b64 v[48:51], v98 offset0:104 offset1:208
	ds_read2_b64 v[52:55], v144 offset0:56 offset1:160
	;; [unrolled: 1-line block ×5, first 2 shown]
	s_waitcnt vmcnt(15) lgkmcnt(4)
	v_mul_f32_e32 v142, v49, v96
	v_mul_f32_e32 v143, v48, v96
	s_waitcnt vmcnt(14)
	v_mul_f32_e32 v148, v51, v113
	v_mul_f32_e32 v96, v50, v113
	s_waitcnt vmcnt(13) lgkmcnt(3)
	v_mul_f32_e32 v149, v53, v115
	v_mul_f32_e32 v113, v52, v115
	s_waitcnt vmcnt(12)
	v_mul_f32_e32 v150, v55, v117
	v_mul_f32_e32 v115, v54, v117
	;; [unrolled: 6-line block ×4, first 2 shown]
	v_fma_f32 v142, v48, v95, -v142
	v_fmac_f32_e32 v143, v49, v95
	v_fma_f32 v95, v50, v112, -v148
	v_fmac_f32_e32 v96, v51, v112
	;; [unrolled: 2-line block ×8, first 2 shown]
	ds_write2_b64 v98, v[142:143], v[95:96] offset0:104 offset1:208
	ds_write2_b64 v144, v[112:113], v[114:115] offset0:56 offset1:160
	;; [unrolled: 1-line block ×4, first 2 shown]
	v_add_u32_e32 v100, 0x2000, v98
	ds_read2_b64 v[48:51], v100 offset0:120 offset1:224
	s_waitcnt vmcnt(7) lgkmcnt(5)
	v_mul_f32_e32 v125, v109, v127
	v_mul_f32_e32 v53, v108, v127
	s_waitcnt vmcnt(6)
	v_mul_f32_e32 v54, v111, v129
	v_mul_f32_e32 v55, v110, v129
	v_fma_f32 v52, v108, v126, -v125
	v_fmac_f32_e32 v53, v109, v126
	v_fma_f32 v54, v110, v128, -v54
	v_fmac_f32_e32 v55, v111, v128
	ds_write2_b64 v147, v[52:53], v[54:55] offset0:40 offset1:144
	s_waitcnt vmcnt(5) lgkmcnt(1)
	v_mul_f32_e32 v52, v49, v131
	v_add_u32_e32 v101, 0x2800, v98
	v_fma_f32 v95, v48, v130, -v52
	ds_read2_b64 v[52:55], v101 offset0:72 offset1:176
	v_mul_f32_e32 v96, v48, v131
	v_fmac_f32_e32 v96, v49, v130
	s_waitcnt vmcnt(4)
	v_mul_f32_e32 v48, v51, v133
	v_mul_f32_e32 v49, v50, v133
	v_fma_f32 v48, v50, v132, -v48
	v_fmac_f32_e32 v49, v51, v132
	ds_write2_b64 v100, v[95:96], v[48:49] offset0:120 offset1:224
	s_waitcnt vmcnt(3) lgkmcnt(1)
	v_mul_f32_e32 v48, v53, v135
	v_add_u32_e32 v100, 0x3000, v98
	v_fma_f32 v95, v52, v134, -v48
	ds_read2_b64 v[48:51], v100 offset0:24 offset1:128
	v_mul_f32_e32 v96, v52, v135
	v_fmac_f32_e32 v96, v53, v134
	s_waitcnt vmcnt(2)
	v_mul_f32_e32 v52, v55, v137
	v_mul_f32_e32 v53, v54, v137
	v_fma_f32 v52, v54, v136, -v52
	v_fmac_f32_e32 v53, v55, v136
	ds_write2_b64 v101, v[95:96], v[52:53] offset0:72 offset1:176
	s_waitcnt vmcnt(1) lgkmcnt(1)
	v_mul_f32_e32 v52, v49, v139
	v_mul_f32_e32 v53, v48, v139
	v_fma_f32 v52, v48, v138, -v52
	v_fmac_f32_e32 v53, v49, v138
	s_waitcnt vmcnt(0)
	v_mul_f32_e32 v48, v51, v141
	v_mul_f32_e32 v49, v50, v141
	v_fma_f32 v48, v50, v140, -v48
	v_fmac_f32_e32 v49, v51, v140
	ds_write2_b64 v100, v[52:53], v[48:49] offset0:24 offset1:128
.LBB0_13:
	s_or_b64 exec, exec, s[8:9]
	s_waitcnt lgkmcnt(0)
	s_barrier
	s_and_saveexec_b64 s[2:3], vcc
	s_cbranch_execz .LBB0_15
; %bb.14:
	v_add_u32_e32 v48, 0x400, v98
	ds_read2_b64 v[64:67], v48 offset0:80 offset1:184
	v_add_u32_e32 v48, 0xc00, v98
	ds_read2_b64 v[60:63], v48 offset0:32 offset1:136
	;; [unrolled: 2-line block ×6, first 2 shown]
	v_add_u32_e32 v48, 0x2c00, v98
	ds_read2_b64 v[56:59], v98 offset1:104
	ds_read2_b64 v[84:87], v48 offset0:48 offset1:152
	ds_read_b64 v[89:90], v98 offset:13312
.LBB0_15:
	s_or_b64 exec, exec, s[2:3]
	s_waitcnt lgkmcnt(0)
	v_sub_f32_e32 v107, v59, v90
	v_add_f32_e32 v100, v89, v58
	v_add_f32_e32 v112, v90, v59
	s_mov_b32 s8, 0x3f3d2fb0
	v_mul_f32_e32 v203, 0xbf2c7751, v107
	v_sub_f32_e32 v110, v65, v87
	v_mul_f32_e32 v119, 0x3f3d2fb0, v112
	v_fma_f32 v48, v100, s8, -v203
	s_mov_b32 s10, 0x3dbcf732
	v_add_f32_e32 v102, v86, v64
	v_add_f32_e32 v117, v87, v65
	v_mul_f32_e32 v122, 0xbf7ee86f, v110
	v_sub_f32_e32 v101, v58, v89
	v_add_f32_e32 v48, v56, v48
	v_mov_b32_e32 v49, v119
	v_mul_f32_e32 v127, 0x3dbcf732, v117
	v_fma_f32 v54, v102, s10, -v122
	v_fmac_f32_e32 v49, 0xbf2c7751, v101
	s_mov_b32 s9, 0x3ee437d1
	v_mul_f32_e32 v125, 0xbf65296c, v107
	v_sub_f32_e32 v103, v64, v86
	v_add_f32_e32 v48, v54, v48
	v_mov_b32_e32 v54, v127
	v_add_f32_e32 v49, v57, v49
	v_mul_f32_e32 v131, 0x3ee437d1, v112
	v_fma_f32 v50, v100, s9, -v125
	v_fmac_f32_e32 v54, 0xbf7ee86f, v103
	s_mov_b32 s11, 0xbf1a4643
	v_mul_f32_e32 v133, 0xbf4c4adb, v110
	v_add_f32_e32 v50, v56, v50
	v_mov_b32_e32 v51, v131
	v_add_f32_e32 v49, v54, v49
	v_mul_f32_e32 v138, 0xbf1a4643, v117
	v_fma_f32 v54, v102, s11, -v133
	v_fmac_f32_e32 v51, 0xbf65296c, v101
	v_mul_f32_e32 v137, 0xbf7ee86f, v107
	v_add_f32_e32 v50, v54, v50
	v_mov_b32_e32 v54, v138
	v_add_f32_e32 v51, v57, v51
	v_mul_f32_e32 v143, 0x3dbcf732, v112
	v_fma_f32 v52, v100, s10, -v137
	v_fmac_f32_e32 v54, 0xbf4c4adb, v103
	s_mov_b32 s16, 0xbf7ba420
	v_mul_f32_e32 v145, 0xbe3c28d5, v110
	v_add_f32_e32 v52, v56, v52
	v_mov_b32_e32 v53, v143
	v_add_f32_e32 v51, v54, v51
	v_mul_f32_e32 v151, 0xbf7ba420, v117
	v_fma_f32 v54, v102, s16, -v145
	v_fmac_f32_e32 v53, 0xbf7ee86f, v101
	v_add_f32_e32 v52, v54, v52
	v_mov_b32_e32 v54, v151
	v_sub_f32_e32 v114, v67, v85
	v_add_f32_e32 v53, v57, v53
	v_fmac_f32_e32 v54, 0xbe3c28d5, v103
	v_add_f32_e32 v104, v84, v66
	v_add_f32_e32 v123, v85, v67
	v_mul_f32_e32 v130, 0xbf4c4adb, v114
	v_add_f32_e32 v53, v54, v53
	v_mul_f32_e32 v134, 0xbf1a4643, v123
	v_fma_f32 v54, v104, s11, -v130
	v_sub_f32_e32 v105, v66, v84
	v_add_f32_e32 v48, v54, v48
	v_mov_b32_e32 v54, v134
	v_fmac_f32_e32 v54, 0xbf4c4adb, v105
	v_mul_f32_e32 v140, 0x3e3c28d5, v114
	v_add_f32_e32 v49, v54, v49
	v_mul_f32_e32 v147, 0xbf7ba420, v123
	v_fma_f32 v54, v104, s16, -v140
	v_add_f32_e32 v50, v54, v50
	v_mov_b32_e32 v54, v147
	v_fmac_f32_e32 v54, 0x3e3c28d5, v105
	s_mov_b32 s17, 0xbe8c1d8e
	v_mul_f32_e32 v153, 0x3f763a35, v114
	v_add_f32_e32 v51, v54, v51
	v_mul_f32_e32 v159, 0xbe8c1d8e, v123
	v_fma_f32 v54, v104, s17, -v153
	v_add_f32_e32 v52, v54, v52
	v_mov_b32_e32 v54, v159
	v_sub_f32_e32 v120, v61, v79
	v_fmac_f32_e32 v54, 0x3f763a35, v105
	v_add_f32_e32 v106, v78, v60
	v_add_f32_e32 v129, v79, v61
	v_mul_f32_e32 v136, 0xbe3c28d5, v120
	v_add_f32_e32 v53, v54, v53
	v_mul_f32_e32 v141, 0xbf7ba420, v129
	v_fma_f32 v54, v106, s16, -v136
	v_sub_f32_e32 v108, v60, v78
	v_add_f32_e32 v48, v54, v48
	v_mov_b32_e32 v54, v141
	v_fmac_f32_e32 v54, 0xbe3c28d5, v108
	v_mul_f32_e32 v148, 0x3f763a35, v120
	v_add_f32_e32 v49, v54, v49
	v_mul_f32_e32 v154, 0xbe8c1d8e, v129
	v_fma_f32 v54, v106, s17, -v148
	v_add_f32_e32 v50, v54, v50
	v_mov_b32_e32 v54, v154
	v_fmac_f32_e32 v54, 0x3f763a35, v108
	s_mov_b32 s18, 0x3f6eb680
	v_mul_f32_e32 v160, 0x3eb8f4ab, v120
	v_add_f32_e32 v51, v54, v51
	v_mul_f32_e32 v165, 0x3f6eb680, v129
	v_fma_f32 v54, v106, s18, -v160
	v_add_f32_e32 v52, v54, v52
	v_mov_b32_e32 v54, v165
	v_sub_f32_e32 v126, v63, v77
	v_fmac_f32_e32 v54, 0x3eb8f4ab, v108
	v_add_f32_e32 v109, v76, v62
	v_add_f32_e32 v135, v77, v63
	s_mov_b32 s19, 0xbf59a7d5
	v_mul_f32_e32 v144, 0x3f06c442, v126
	v_add_f32_e32 v53, v54, v53
	v_mul_f32_e32 v150, 0xbf59a7d5, v135
	v_fma_f32 v54, v109, s19, -v144
	v_sub_f32_e32 v111, v62, v76
	v_add_f32_e32 v48, v54, v48
	v_mov_b32_e32 v54, v150
	v_fmac_f32_e32 v54, 0x3f06c442, v111
	v_mul_f32_e32 v156, 0x3f2c7751, v126
	v_add_f32_e32 v49, v54, v49
	v_mul_f32_e32 v161, 0x3f3d2fb0, v135
	v_fma_f32 v54, v109, s8, -v156
	v_add_f32_e32 v50, v54, v50
	v_mov_b32_e32 v54, v161
	v_fmac_f32_e32 v54, 0x3f2c7751, v111
	v_mul_f32_e32 v166, 0xbf65296c, v126
	v_add_f32_e32 v51, v54, v51
	v_mul_f32_e32 v170, 0x3ee437d1, v135
	v_fma_f32 v54, v109, s9, -v166
	v_add_f32_e32 v52, v54, v52
	v_mov_b32_e32 v54, v170
	v_sub_f32_e32 v132, v69, v83
	v_fmac_f32_e32 v54, 0xbf65296c, v111
	v_add_f32_e32 v113, v82, v68
	v_add_f32_e32 v142, v83, v69
	v_mul_f32_e32 v152, 0x3f763a35, v132
	v_add_f32_e32 v53, v54, v53
	v_mul_f32_e32 v157, 0xbe8c1d8e, v142
	v_fma_f32 v54, v113, s17, -v152
	v_sub_f32_e32 v116, v68, v82
	v_add_f32_e32 v48, v54, v48
	v_mov_b32_e32 v54, v157
	v_fmac_f32_e32 v54, 0x3f763a35, v116
	v_mul_f32_e32 v162, 0xbeb8f4ab, v132
	v_add_f32_e32 v49, v54, v49
	v_mul_f32_e32 v167, 0x3f6eb680, v142
	v_fma_f32 v54, v113, s18, -v162
	v_add_f32_e32 v50, v54, v50
	v_mov_b32_e32 v54, v167
	v_fmac_f32_e32 v54, 0xbeb8f4ab, v116
	v_mul_f32_e32 v171, 0xbf06c442, v132
	v_add_f32_e32 v51, v54, v51
	v_mul_f32_e32 v174, 0xbf59a7d5, v142
	v_fma_f32 v54, v113, s19, -v171
	v_add_f32_e32 v52, v54, v52
	v_mov_b32_e32 v54, v174
	v_sub_f32_e32 v139, v71, v81
	v_fmac_f32_e32 v54, 0xbf06c442, v116
	v_add_f32_e32 v118, v80, v70
	v_add_f32_e32 v149, v81, v71
	;; [unrolled: 25-line block ×3, first 2 shown]
	v_mul_f32_e32 v164, 0x3eb8f4ab, v146
	v_add_f32_e32 v53, v50, v53
	v_mul_f32_e32 v169, 0x3f6eb680, v155
	v_fma_f32 v50, v124, s18, -v164
	v_sub_f32_e32 v128, v72, v74
	v_add_f32_e32 v50, v50, v48
	v_mov_b32_e32 v48, v169
	v_fmac_f32_e32 v48, 0x3eb8f4ab, v128
	v_mul_f32_e32 v173, 0xbf06c442, v146
	v_add_f32_e32 v51, v48, v49
	v_fma_f32 v48, v124, s19, -v173
	v_mul_f32_e32 v178, 0x3f2c7751, v146
	v_mul_f32_e32 v176, 0xbf59a7d5, v155
	v_add_f32_e32 v48, v48, v54
	v_mul_f32_e32 v179, 0x3f3d2fb0, v155
	v_fma_f32 v54, v124, s8, -v178
	v_mov_b32_e32 v49, v176
	v_add_f32_e32 v54, v54, v52
	v_mov_b32_e32 v52, v179
	v_fmac_f32_e32 v49, 0xbf06c442, v128
	v_fmac_f32_e32 v52, 0x3f2c7751, v128
	v_add_f32_e32 v49, v49, v55
	v_add_f32_e32 v55, v52, v53
	s_barrier
	s_and_saveexec_b64 s[2:3], vcc
	s_cbranch_execz .LBB0_17
; %bb.16:
	v_mul_f32_e32 v190, 0xbf763a35, v101
	v_mov_b32_e32 v52, v190
	v_mul_f32_e32 v191, 0x3f06c442, v103
	v_fmac_f32_e32 v52, 0xbe8c1d8e, v112
	v_mov_b32_e32 v53, v191
	v_add_f32_e32 v52, v57, v52
	v_fmac_f32_e32 v53, 0xbf59a7d5, v117
	v_mul_f32_e32 v240, 0x3f2c7751, v105
	v_add_f32_e32 v52, v53, v52
	v_mov_b32_e32 v53, v240
	v_fmac_f32_e32 v53, 0x3f3d2fb0, v123
	v_mul_f32_e32 v241, 0xbf65296c, v108
	v_add_f32_e32 v52, v53, v52
	v_mov_b32_e32 v53, v241
	;; [unrolled: 4-line block ×6, first 2 shown]
	v_fmac_f32_e32 v53, 0xbf1a4643, v155
	v_mul_f32_e32 v246, 0xbf763a35, v107
	v_add_f32_e32 v233, v53, v52
	v_fma_f32 v52, v100, s17, -v246
	v_mul_f32_e32 v247, 0x3f06c442, v110
	v_add_f32_e32 v52, v56, v52
	v_fma_f32 v95, v102, s19, -v247
	;; [unrolled: 3-line block ×8, first 2 shown]
	v_mul_f32_e32 v188, 0xbf4c4adb, v101
	v_add_f32_e32 v232, v95, v52
	v_mov_b32_e32 v95, v188
	v_mul_f32_e32 v189, 0x3f763a35, v103
	v_fmac_f32_e32 v95, 0xbf1a4643, v112
	v_mov_b32_e32 v96, v189
	v_add_f32_e32 v95, v57, v95
	v_fmac_f32_e32 v96, 0xbe8c1d8e, v117
	v_mul_f32_e32 v254, 0xbeb8f4ab, v105
	v_add_f32_e32 v95, v96, v95
	v_mov_b32_e32 v96, v254
	v_fmac_f32_e32 v96, 0x3f6eb680, v123
	v_mul_f32_e32 v255, 0xbf06c442, v108
	v_add_f32_e32 v95, v96, v95
	v_mov_b32_e32 v96, v255
	;; [unrolled: 4-line block ×6, first 2 shown]
	v_fmac_f32_e32 v96, 0x3ee437d1, v155
	v_mul_f32_e32 v193, 0xbf4c4adb, v107
	v_add_f32_e32 v96, v96, v95
	v_fma_f32 v95, v100, s11, -v193
	v_mul_f32_e32 v195, 0x3f763a35, v110
	v_add_f32_e32 v95, v56, v95
	v_mov_b32_e32 v198, v180
	v_fma_f32 v180, v102, s17, -v195
	v_mov_b32_e32 v202, v196
	v_mul_f32_e32 v196, 0xbeb8f4ab, v114
	v_add_f32_e32 v95, v180, v95
	v_fma_f32 v180, v104, s18, -v196
	v_mul_f32_e32 v197, 0xbf06c442, v120
	v_add_f32_e32 v95, v180, v95
	v_fma_f32 v180, v106, s19, -v197
	;; [unrolled: 3-line block ×6, first 2 shown]
	v_mul_f32_e32 v186, 0xbf06c442, v101
	v_add_f32_e32 v95, v180, v95
	v_mov_b32_e32 v180, v186
	v_mul_f32_e32 v187, 0x3f65296c, v103
	v_fmac_f32_e32 v180, 0xbf59a7d5, v112
	v_mov_b32_e32 v181, v187
	v_mul_f32_e32 v52, 0xbf7ee86f, v105
	v_add_f32_e32 v180, v57, v180
	v_fmac_f32_e32 v181, 0x3ee437d1, v117
	v_mov_b32_e32 v53, v52
	v_add_f32_e32 v180, v181, v180
	v_fmac_f32_e32 v53, 0x3dbcf732, v123
	v_mul_f32_e32 v210, 0x3f4c4adb, v108
	v_add_f32_e32 v53, v53, v180
	v_mov_b32_e32 v180, v210
	v_fmac_f32_e32 v180, 0xbf1a4643, v129
	v_mul_f32_e32 v234, 0xbeb8f4ab, v111
	v_add_f32_e32 v53, v180, v53
	v_mov_b32_e32 v180, v234
	;; [unrolled: 4-line block ×3, first 2 shown]
	v_fma_f32 v186, v112, s19, -v186
	v_fmac_f32_e32 v180, 0xbf7ba420, v142
	v_mul_f32_e32 v223, 0x3f2c7751, v121
	v_add_f32_e32 v186, v57, v186
	v_fma_f32 v187, v117, s9, -v187
	v_add_f32_e32 v53, v180, v53
	v_mov_b32_e32 v180, v223
	v_add_f32_e32 v186, v187, v186
	v_fma_f32 v52, v123, s10, -v52
	v_fmac_f32_e32 v180, 0x3f3d2fb0, v149
	v_mul_f32_e32 v205, 0xbf763a35, v128
	v_add_f32_e32 v52, v52, v186
	v_fma_f32 v186, v129, s11, -v210
	v_add_f32_e32 v53, v180, v53
	v_mov_b32_e32 v180, v205
	v_add_f32_e32 v52, v186, v52
	v_fma_f32 v186, v135, s18, -v234
	v_fmac_f32_e32 v180, 0xbe8c1d8e, v155
	v_add_f32_e32 v52, v186, v52
	v_fma_f32 v186, v142, s16, -v211
	v_add_f32_e32 v181, v180, v53
	v_mul_f32_e32 v53, 0xbf06c442, v107
	v_add_f32_e32 v52, v186, v52
	v_fma_f32 v186, v149, s8, -v223
	v_fma_f32 v180, v100, s19, -v53
	v_mul_f32_e32 v229, 0x3f65296c, v110
	v_add_f32_e32 v52, v186, v52
	v_fma_f32 v186, v155, s17, -v205
	v_fmac_f32_e32 v53, 0xbf59a7d5, v100
	v_add_f32_e32 v180, v56, v180
	v_fma_f32 v182, v102, s9, -v229
	v_mul_f32_e32 v217, 0xbf7ee86f, v114
	v_add_f32_e32 v187, v186, v52
	v_add_f32_e32 v52, v56, v53
	v_fmac_f32_e32 v229, 0x3ee437d1, v102
	v_add_f32_e32 v180, v182, v180
	v_fma_f32 v182, v104, s10, -v217
	v_mul_f32_e32 v235, 0x3f4c4adb, v120
	v_add_f32_e32 v52, v229, v52
	v_fmac_f32_e32 v217, 0x3dbcf732, v104
	v_add_f32_e32 v180, v182, v180
	v_fma_f32 v182, v106, s11, -v235
	v_mul_f32_e32 v212, 0xbeb8f4ab, v126
	;; [unrolled: 5-line block ×5, first 2 shown]
	v_add_f32_e32 v52, v218, v52
	v_fmac_f32_e32 v204, 0x3f3d2fb0, v118
	v_add_f32_e32 v180, v182, v180
	v_fma_f32 v182, v124, s17, -v224
	v_add_f32_e32 v52, v204, v52
	v_fmac_f32_e32 v224, 0xbe8c1d8e, v124
	v_add_f32_e32 v186, v224, v52
	v_fma_f32 v52, v112, s11, -v188
	v_add_f32_e32 v52, v57, v52
	v_fma_f32 v53, v117, s17, -v189
	v_add_f32_e32 v52, v53, v52
	v_fma_f32 v53, v123, s18, -v254
	v_add_f32_e32 v52, v53, v52
	v_fma_f32 v53, v129, s19, -v255
	v_add_f32_e32 v52, v53, v52
	v_fma_f32 v53, v135, s10, -v88
	v_add_f32_e32 v52, v53, v52
	v_fma_f32 v53, v142, s8, -v97
	v_add_f32_e32 v52, v53, v52
	v_fma_f32 v53, v149, s16, -v192
	v_add_f32_e32 v52, v53, v52
	v_fma_f32 v53, v155, s9, -v194
	v_fmac_f32_e32 v193, 0xbf1a4643, v100
	v_add_f32_e32 v189, v53, v52
	v_add_f32_e32 v52, v56, v193
	v_fmac_f32_e32 v195, 0xbe8c1d8e, v102
	v_add_f32_e32 v52, v195, v52
	v_fmac_f32_e32 v196, 0x3f6eb680, v104
	;; [unrolled: 2-line block ×7, first 2 shown]
	v_add_f32_e32 v188, v228, v52
	v_fma_f32 v52, v112, s17, -v190
	v_add_f32_e32 v52, v57, v52
	v_fma_f32 v53, v117, s19, -v191
	;; [unrolled: 2-line block ×8, first 2 shown]
	v_fmac_f32_e32 v246, 0xbe8c1d8e, v100
	v_add_f32_e32 v191, v53, v52
	v_add_f32_e32 v52, v56, v246
	v_fmac_f32_e32 v247, 0xbf59a7d5, v102
	v_add_f32_e32 v52, v247, v52
	v_fmac_f32_e32 v248, 0x3f3d2fb0, v104
	;; [unrolled: 2-line block ×7, first 2 shown]
	v_add_f32_e32 v190, v253, v52
	v_mul_f32_e32 v52, 0xbf7ee86f, v101
	v_sub_f32_e32 v52, v143, v52
	v_mul_f32_e32 v53, 0xbe3c28d5, v103
	v_add_f32_e32 v52, v57, v52
	v_sub_f32_e32 v53, v151, v53
	v_add_f32_e32 v52, v53, v52
	v_mul_f32_e32 v53, 0x3f763a35, v105
	v_mul_f32_e32 v215, 0x3eb8f4ab, v108
	v_sub_f32_e32 v53, v159, v53
	v_mul_f32_e32 v221, 0xbf65296c, v111
	v_add_f32_e32 v52, v53, v52
	v_sub_f32_e32 v53, v165, v215
	v_mul_f32_e32 v227, 0xbf06c442, v116
	v_add_f32_e32 v52, v53, v52
	;; [unrolled: 3-line block ×4, first 2 shown]
	v_sub_f32_e32 v53, v177, v209
	v_add_f32_e32 v52, v53, v52
	v_sub_f32_e32 v53, v179, v239
	v_add_f32_e32 v179, v53, v52
	v_mul_f32_e32 v52, 0x3dbcf732, v100
	v_add_f32_e32 v52, v52, v137
	v_mul_f32_e32 v53, 0xbf7ba420, v102
	v_add_f32_e32 v52, v56, v52
	v_add_f32_e32 v53, v53, v145
	;; [unrolled: 1-line block ×3, first 2 shown]
	v_mul_f32_e32 v53, 0xbe8c1d8e, v104
	v_add_f32_e32 v53, v53, v153
	v_add_f32_e32 v52, v53, v52
	v_mul_f32_e32 v53, 0x3f6eb680, v106
	v_add_f32_e32 v53, v53, v160
	v_add_f32_e32 v52, v53, v52
	;; [unrolled: 3-line block ×3, first 2 shown]
	v_mul_f32_e32 v53, 0xbf59a7d5, v113
	v_mul_f32_e32 v199, 0xbf1a4643, v118
	v_add_f32_e32 v53, v53, v171
	v_mul_f32_e32 v238, 0x3f3d2fb0, v124
	v_add_f32_e32 v52, v53, v52
	v_add_f32_e32 v53, v199, v175
	;; [unrolled: 1-line block ×5, first 2 shown]
	v_mul_f32_e32 v52, 0xbf65296c, v101
	v_sub_f32_e32 v52, v131, v52
	v_mul_f32_e32 v53, 0xbf4c4adb, v103
	v_add_f32_e32 v52, v57, v52
	v_sub_f32_e32 v53, v138, v53
	v_add_f32_e32 v52, v53, v52
	v_mul_f32_e32 v53, 0x3e3c28d5, v105
	v_sub_f32_e32 v53, v147, v53
	v_add_f32_e32 v52, v53, v52
	v_mul_f32_e32 v53, 0x3f763a35, v108
	;; [unrolled: 3-line block ×7, first 2 shown]
	v_add_f32_e32 v52, v52, v125
	v_mul_f32_e32 v53, 0xbf1a4643, v102
	v_add_f32_e32 v52, v56, v52
	v_add_f32_e32 v53, v53, v133
	;; [unrolled: 1-line block ×3, first 2 shown]
	v_mul_f32_e32 v53, 0xbf7ba420, v104
	v_add_f32_e32 v53, v53, v140
	v_add_f32_e32 v52, v53, v52
	v_mul_f32_e32 v53, 0xbe8c1d8e, v106
	v_add_f32_e32 v53, v53, v148
	v_add_f32_e32 v52, v53, v52
	;; [unrolled: 3-line block ×6, first 2 shown]
	v_mul_f32_e32 v52, 0xbf2c7751, v101
	v_sub_f32_e32 v52, v119, v52
	v_mul_f32_e32 v53, 0xbf7ee86f, v103
	v_add_f32_e32 v52, v57, v52
	v_sub_f32_e32 v53, v127, v53
	v_add_f32_e32 v52, v53, v52
	v_mul_f32_e32 v53, 0xbf4c4adb, v105
	v_sub_f32_e32 v53, v134, v53
	v_add_f32_e32 v52, v53, v52
	v_mul_f32_e32 v53, 0xbe3c28d5, v108
	;; [unrolled: 3-line block ×7, first 2 shown]
	v_add_f32_e32 v52, v52, v203
	v_mul_f32_e32 v53, 0x3dbcf732, v102
	v_add_f32_e32 v52, v56, v52
	v_add_f32_e32 v53, v53, v122
	;; [unrolled: 1-line block ×3, first 2 shown]
	v_mul_f32_e32 v53, 0xbf1a4643, v104
	v_add_f32_e32 v53, v53, v130
	v_add_f32_e32 v52, v53, v52
	v_mul_f32_e32 v53, 0xbf7ba420, v106
	v_add_f32_e32 v53, v53, v136
	v_add_f32_e32 v52, v53, v52
	;; [unrolled: 3-line block ×6, first 2 shown]
	v_mul_f32_e32 v52, 0x3f6eb680, v112
	v_mov_b32_e32 v53, v52
	v_mul_f32_e32 v88, 0x3f3d2fb0, v117
	v_fmac_f32_e32 v53, 0x3eb8f4ab, v101
	v_mov_b32_e32 v97, v88
	v_mul_f32_e32 v184, 0xbe3c28d5, v101
	v_add_f32_e32 v53, v57, v53
	v_fmac_f32_e32 v97, 0x3f2c7751, v103
	v_add_f32_e32 v180, v182, v180
	v_mov_b32_e32 v182, v184
	v_add_f32_e32 v53, v97, v53
	v_mul_f32_e32 v97, 0x3ee437d1, v123
	v_fmac_f32_e32 v182, 0xbf7ba420, v112
	v_mul_f32_e32 v185, 0x3eb8f4ab, v103
	v_fma_f32 v184, v112, s16, -v184
	v_mov_b32_e32 v112, v97
	v_mov_b32_e32 v183, v185
	v_fmac_f32_e32 v112, 0x3f65296c, v105
	v_add_f32_e32 v182, v57, v182
	v_fmac_f32_e32 v183, 0x3f6eb680, v117
	v_mul_f32_e32 v206, 0xbf06c442, v105
	v_add_f32_e32 v53, v112, v53
	v_mul_f32_e32 v112, 0x3dbcf732, v129
	v_add_f32_e32 v182, v183, v182
	v_mov_b32_e32 v183, v206
	v_mov_b32_e32 v115, v112
	v_fmac_f32_e32 v183, 0xbf59a7d5, v123
	v_mul_f32_e32 v230, 0x3f2c7751, v108
	v_fma_f32 v185, v117, s18, -v185
	v_fmac_f32_e32 v115, 0x3f7ee86f, v108
	v_mul_f32_e32 v117, 0xbe8c1d8e, v135
	v_add_f32_e32 v182, v183, v182
	v_mov_b32_e32 v183, v230
	v_add_f32_e32 v53, v115, v53
	v_mov_b32_e32 v115, v117
	v_fmac_f32_e32 v183, 0x3f3d2fb0, v129
	v_mul_f32_e32 v207, 0xbf4c4adb, v111
	v_fmac_f32_e32 v115, 0x3f763a35, v111
	v_mul_f32_e32 v119, 0xbf1a4643, v142
	v_add_f32_e32 v182, v183, v182
	v_mov_b32_e32 v183, v207
	v_add_f32_e32 v53, v115, v53
	v_mov_b32_e32 v115, v119
	v_fmac_f32_e32 v183, 0xbf1a4643, v135
	v_mul_f32_e32 v236, 0x3f65296c, v116
	v_fmac_f32_e32 v115, 0x3f4c4adb, v116
	v_mul_f32_e32 v122, 0xbf59a7d5, v149
	v_add_f32_e32 v182, v183, v182
	v_mov_b32_e32 v183, v236
	v_add_f32_e32 v184, v57, v184
	v_add_f32_e32 v53, v115, v53
	v_mov_b32_e32 v115, v122
	v_fmac_f32_e32 v183, 0x3ee437d1, v142
	v_mul_f32_e32 v213, 0xbf763a35, v121
	v_add_f32_e32 v184, v185, v184
	v_fma_f32 v185, v123, s19, -v206
	v_fmac_f32_e32 v115, 0x3f06c442, v121
	v_mul_f32_e32 v123, 0xbf7ba420, v155
	v_add_f32_e32 v182, v183, v182
	v_mov_b32_e32 v183, v213
	v_add_f32_e32 v53, v115, v53
	v_mov_b32_e32 v115, v123
	v_fmac_f32_e32 v183, 0xbe8c1d8e, v149
	v_mul_f32_e32 v219, 0x3f7ee86f, v128
	v_fmac_f32_e32 v115, 0x3e3c28d5, v128
	v_add_f32_e32 v182, v183, v182
	v_mov_b32_e32 v183, v219
	v_add_f32_e32 v115, v115, v53
	v_mul_f32_e32 v53, 0xbeb8f4ab, v107
	v_fmac_f32_e32 v52, 0xbeb8f4ab, v101
	v_fmac_f32_e32 v183, 0x3dbcf732, v155
	v_mul_f32_e32 v200, 0xbe3c28d5, v107
	v_mul_f32_e32 v225, 0x3eb8f4ab, v110
	v_mov_b32_e32 v107, v53
	v_mul_f32_e32 v110, 0xbf2c7751, v110
	v_add_f32_e32 v52, v57, v52
	v_fmac_f32_e32 v88, 0xbf2c7751, v103
	v_add_f32_e32 v183, v183, v182
	v_fma_f32 v182, v100, s16, -v200
	v_fmac_f32_e32 v107, 0x3f6eb680, v100
	v_mov_b32_e32 v125, v110
	v_add_f32_e32 v59, v59, v57
	v_add_f32_e32 v58, v58, v56
	;; [unrolled: 1-line block ×3, first 2 shown]
	v_fmac_f32_e32 v97, 0xbf65296c, v105
	v_add_f32_e32 v182, v56, v182
	v_fma_f32 v231, v102, s18, -v225
	v_add_f32_e32 v107, v56, v107
	v_fmac_f32_e32 v125, 0x3f3d2fb0, v102
	v_add_f32_e32 v59, v65, v59
	v_add_f32_e32 v58, v64, v58
	;; [unrolled: 1-line block ×3, first 2 shown]
	v_fmac_f32_e32 v112, 0xbf7ee86f, v108
	v_add_f32_e32 v182, v231, v182
	v_mul_f32_e32 v231, 0xbf06c442, v114
	v_add_f32_e32 v107, v125, v107
	v_mul_f32_e32 v125, 0xbf65296c, v114
	v_add_f32_e32 v59, v67, v59
	v_add_f32_e32 v58, v66, v58
	;; [unrolled: 1-line block ×3, first 2 shown]
	v_fmac_f32_e32 v117, 0xbf763a35, v111
	v_fma_f32 v208, v104, s19, -v231
	v_mov_b32_e32 v114, v125
	v_add_f32_e32 v59, v61, v59
	v_add_f32_e32 v58, v60, v58
	;; [unrolled: 1-line block ×3, first 2 shown]
	v_fmac_f32_e32 v119, 0xbf4c4adb, v116
	v_add_f32_e32 v182, v208, v182
	v_mul_f32_e32 v208, 0x3f2c7751, v120
	v_add_f32_e32 v184, v185, v184
	v_fma_f32 v185, v129, s8, -v230
	v_fmac_f32_e32 v114, 0x3ee437d1, v104
	v_mul_f32_e32 v120, 0xbf7ee86f, v120
	v_add_f32_e32 v59, v63, v59
	v_add_f32_e32 v58, v62, v58
	;; [unrolled: 1-line block ×3, first 2 shown]
	v_fmac_f32_e32 v122, 0xbf06c442, v121
	v_fma_f32 v237, v106, s8, -v208
	v_add_f32_e32 v184, v185, v184
	v_fma_f32 v185, v135, s11, -v207
	v_add_f32_e32 v107, v114, v107
	v_mov_b32_e32 v114, v120
	v_add_f32_e32 v59, v69, v59
	v_add_f32_e32 v58, v68, v58
	;; [unrolled: 1-line block ×3, first 2 shown]
	v_fmac_f32_e32 v123, 0xbe3c28d5, v128
	v_add_f32_e32 v182, v237, v182
	v_mul_f32_e32 v237, 0xbf4c4adb, v126
	v_add_f32_e32 v184, v185, v184
	v_fma_f32 v185, v142, s9, -v236
	v_fmac_f32_e32 v114, 0x3dbcf732, v106
	v_mul_f32_e32 v126, 0xbf763a35, v126
	v_add_f32_e32 v59, v71, v59
	v_add_f32_e32 v58, v70, v58
	v_add_f32_e32 v57, v123, v52
	v_fma_f32 v52, v100, s18, -v53
	v_add_f32_e32 v184, v185, v184
	v_fma_f32 v185, v149, s17, -v213
	v_add_f32_e32 v107, v114, v107
	v_mov_b32_e32 v114, v126
	v_add_f32_e32 v59, v73, v59
	v_add_f32_e32 v58, v72, v58
	;; [unrolled: 1-line block ×3, first 2 shown]
	v_fma_f32 v53, v102, s8, -v110
	v_add_f32_e32 v184, v185, v184
	v_fma_f32 v185, v155, s10, -v219
	v_fmac_f32_e32 v200, 0xbf7ba420, v100
	v_fmac_f32_e32 v114, 0xbe8c1d8e, v109
	v_mul_f32_e32 v127, 0xbf4c4adb, v132
	v_add_f32_e32 v59, v75, v59
	v_add_f32_e32 v58, v74, v58
	;; [unrolled: 1-line block ×3, first 2 shown]
	v_fma_f32 v53, v104, s9, -v125
	v_fma_f32 v214, v109, s11, -v237
	v_add_f32_e32 v185, v185, v184
	v_add_f32_e32 v184, v56, v200
	v_fmac_f32_e32 v225, 0x3f6eb680, v102
	v_add_f32_e32 v107, v114, v107
	v_mov_b32_e32 v114, v127
	v_add_f32_e32 v59, v81, v59
	v_add_f32_e32 v58, v80, v58
	;; [unrolled: 1-line block ×3, first 2 shown]
	v_fma_f32 v53, v106, s10, -v120
	v_add_f32_e32 v182, v214, v182
	v_mul_f32_e32 v214, 0x3f65296c, v132
	v_add_f32_e32 v184, v225, v184
	v_fmac_f32_e32 v231, 0xbf59a7d5, v104
	v_fmac_f32_e32 v114, 0xbf1a4643, v113
	v_mul_f32_e32 v129, 0xbf06c442, v139
	v_add_f32_e32 v59, v83, v59
	v_add_f32_e32 v58, v82, v58
	;; [unrolled: 1-line block ×3, first 2 shown]
	v_fma_f32 v53, v109, s17, -v126
	v_fma_f32 v220, v113, s9, -v214
	v_add_f32_e32 v184, v231, v184
	v_fmac_f32_e32 v208, 0x3f3d2fb0, v106
	v_add_f32_e32 v107, v114, v107
	v_mov_b32_e32 v114, v129
	v_add_f32_e32 v59, v77, v59
	v_add_f32_e32 v58, v76, v58
	;; [unrolled: 1-line block ×3, first 2 shown]
	v_fma_f32 v53, v113, s11, -v127
	v_add_f32_e32 v182, v220, v182
	v_mul_f32_e32 v220, 0xbf763a35, v139
	v_add_f32_e32 v184, v208, v184
	v_fmac_f32_e32 v237, 0xbf1a4643, v109
	v_fmac_f32_e32 v114, 0xbf59a7d5, v118
	v_mul_f32_e32 v132, 0xbe3c28d5, v146
	v_add_f32_e32 v59, v79, v59
	v_add_f32_e32 v58, v78, v58
	;; [unrolled: 1-line block ×3, first 2 shown]
	v_fma_f32 v53, v118, s19, -v129
	v_fma_f32 v201, v118, s17, -v220
	v_add_f32_e32 v184, v237, v184
	v_fmac_f32_e32 v214, 0x3ee437d1, v113
	v_mov_b32_e32 v196, v202
	v_add_f32_e32 v107, v114, v107
	v_mov_b32_e32 v114, v132
	v_add_f32_e32 v59, v85, v59
	v_add_f32_e32 v58, v84, v58
	;; [unrolled: 1-line block ×3, first 2 shown]
	v_fma_f32 v53, v124, s16, -v132
	v_add_f32_e32 v182, v201, v182
	v_mul_f32_e32 v201, 0x3f7ee86f, v146
	v_add_f32_e32 v184, v214, v184
	v_fmac_f32_e32 v220, 0xbe8c1d8e, v118
	v_fmac_f32_e32 v114, 0xbf7ba420, v124
	v_add_f32_e32 v59, v87, v59
	v_add_f32_e32 v58, v86, v58
	;; [unrolled: 1-line block ×3, first 2 shown]
	v_mul_lo_u16_e32 v52, 17, v196
	v_fma_f32 v226, v124, s10, -v201
	v_add_f32_e32 v184, v220, v184
	v_fmac_f32_e32 v201, 0x3dbcf732, v124
	v_add_f32_e32 v114, v114, v107
	v_add_f32_e32 v59, v90, v59
	;; [unrolled: 1-line block ×3, first 2 shown]
	v_lshlrev_b32_e32 v52, 3, v52
	v_add_f32_e32 v182, v226, v182
	v_add_f32_e32 v184, v201, v184
	ds_write2_b64 v52, v[58:59], v[114:115] offset1:1
	ds_write2_b64 v52, v[130:131], v[137:138] offset0:2 offset1:3
	ds_write2_b64 v52, v[178:179], v[190:191] offset0:4 offset1:5
	;; [unrolled: 1-line block ×5, first 2 shown]
	v_mov_b32_e32 v180, v198
	ds_write2_b64 v52, v[232:233], v[54:55] offset0:12 offset1:13
	ds_write2_b64 v52, v[48:49], v[50:51] offset0:14 offset1:15
	ds_write_b64 v52, v[56:57] offset:128
.LBB0_17:
	s_or_b64 exec, exec, s[2:3]
	s_waitcnt lgkmcnt(0)
	s_barrier
	ds_read2_b64 v[56:59], v98 offset1:136
	v_add_u32_e32 v52, 0x800, v98
	ds_read2_b64 v[60:63], v52 offset0:16 offset1:152
	v_add_u32_e32 v52, 0x1000, v98
	ds_read2_b64 v[64:67], v52 offset0:32 offset1:168
	;; [unrolled: 2-line block ×3, first 2 shown]
	v_add_u32_e32 v52, 0x2000, v98
	s_waitcnt lgkmcnt(3)
	v_mul_f32_e32 v80, v29, v59
	v_mul_f32_e32 v29, v29, v58
	ds_read2_b64 v[72:75], v52 offset0:64 offset1:200
	v_fmac_f32_e32 v80, v28, v58
	v_fma_f32 v28, v28, v59, -v29
	s_waitcnt lgkmcnt(3)
	v_mul_f32_e32 v29, v31, v61
	v_mul_f32_e32 v31, v31, v60
	v_fmac_f32_e32 v29, v30, v60
	v_fma_f32 v30, v30, v61, -v31
	v_mul_f32_e32 v31, v21, v63
	v_mul_f32_e32 v21, v21, v62
	v_add_u32_e32 v52, 0x2800, v98
	v_fmac_f32_e32 v31, v20, v62
	v_fma_f32 v58, v20, v63, -v21
	s_waitcnt lgkmcnt(2)
	v_mul_f32_e32 v59, v23, v65
	v_mul_f32_e32 v20, v23, v64
	;; [unrolled: 1-line block ×4, first 2 shown]
	ds_read2_b64 v[76:79], v52 offset0:80 offset1:216
	ds_read_b64 v[52:53], v98 offset:13056
	v_fmac_f32_e32 v23, v16, v66
	v_fma_f32 v16, v16, v67, -v17
	s_waitcnt lgkmcnt(3)
	v_mul_f32_e32 v17, v19, v69
	v_mul_f32_e32 v19, v19, v68
	v_fmac_f32_e32 v17, v18, v68
	v_fma_f32 v18, v18, v69, -v19
	v_mul_f32_e32 v19, v13, v71
	v_mul_f32_e32 v13, v13, v70
	v_fmac_f32_e32 v19, v12, v70
	v_fma_f32 v12, v12, v71, -v13
	s_waitcnt lgkmcnt(2)
	v_mul_f32_e32 v13, v15, v73
	v_mul_f32_e32 v15, v15, v72
	v_fmac_f32_e32 v59, v22, v64
	v_fma_f32 v22, v22, v65, -v20
	v_fmac_f32_e32 v13, v14, v72
	v_fma_f32 v14, v14, v73, -v15
	v_mul_f32_e32 v15, v33, v75
	v_mul_f32_e32 v20, v33, v74
	v_fmac_f32_e32 v15, v32, v74
	v_fma_f32 v32, v32, v75, -v20
	s_waitcnt lgkmcnt(1)
	v_mul_f32_e32 v33, v35, v77
	v_mul_f32_e32 v20, v35, v76
	v_fmac_f32_e32 v33, v34, v76
	v_fma_f32 v34, v34, v77, -v20
	v_mul_f32_e32 v35, v25, v79
	v_mul_f32_e32 v20, v25, v78
	v_fmac_f32_e32 v35, v24, v78
	v_fma_f32 v24, v24, v79, -v20
	s_waitcnt lgkmcnt(0)
	v_mul_f32_e32 v25, v27, v53
	v_mul_f32_e32 v20, v27, v52
	v_fmac_f32_e32 v25, v26, v52
	v_fma_f32 v26, v26, v53, -v20
	v_add_f32_e32 v20, v56, v80
	v_add_f32_e32 v21, v57, v28
	;; [unrolled: 1-line block ×25, first 2 shown]
	v_sub_f32_e32 v25, v80, v25
	v_mul_f32_e32 v60, 0x3f62ad3f, v52
	v_mul_f32_e32 v64, 0x3f116cb1, v52
	;; [unrolled: 1-line block ×6, first 2 shown]
	v_add_f32_e32 v21, v21, v26
	v_sub_f32_e32 v26, v28, v26
	v_mov_b32_e32 v61, v60
	v_mov_b32_e32 v65, v64
	;; [unrolled: 1-line block ×6, first 2 shown]
	v_fmac_f32_e32 v52, 0xbe750f2a, v25
	v_mul_f32_e32 v28, 0xbeedf032, v26
	v_fmac_f32_e32 v61, 0x3eedf032, v25
	v_fmac_f32_e32 v60, 0xbeedf032, v25
	v_mul_f32_e32 v62, 0xbf52af12, v26
	v_fmac_f32_e32 v65, 0x3f52af12, v25
	;; [unrolled: 3-line block ×6, first 2 shown]
	v_add_f32_e32 v25, v57, v52
	v_add_f32_e32 v52, v30, v24
	v_sub_f32_e32 v24, v30, v24
	s_mov_b32 s8, 0x3f62ad3f
	v_mov_b32_e32 v53, v28
	s_mov_b32 s3, 0x3f116cb1
	v_mov_b32_e32 v63, v62
	;; [unrolled: 2-line block ×6, first 2 shown]
	v_mul_f32_e32 v30, 0xbf52af12, v24
	v_fmac_f32_e32 v53, 0x3f62ad3f, v27
	v_fma_f32 v28, v27, s8, -v28
	v_fmac_f32_e32 v63, 0x3f116cb1, v27
	v_fma_f32 v62, v27, s3, -v62
	;; [unrolled: 2-line block ×6, first 2 shown]
	v_add_f32_e32 v27, v29, v35
	v_sub_f32_e32 v29, v29, v35
	v_mov_b32_e32 v35, v30
	v_add_f32_e32 v53, v56, v53
	v_fmac_f32_e32 v35, 0x3f116cb1, v27
	v_add_f32_e32 v35, v35, v53
	v_mul_f32_e32 v53, 0x3f116cb1, v52
	v_add_f32_e32 v28, v56, v28
	v_add_f32_e32 v60, v57, v60
	;; [unrolled: 1-line block ×12, first 2 shown]
	v_mov_b32_e32 v56, v53
	v_fma_f32 v30, v27, s3, -v30
	v_fmac_f32_e32 v53, 0xbf52af12, v29
	v_add_f32_e32 v28, v30, v28
	v_add_f32_e32 v30, v53, v60
	v_mul_f32_e32 v53, 0xbf6f5d39, v24
	v_add_f32_e32 v61, v57, v61
	v_add_f32_e32 v65, v57, v65
	;; [unrolled: 1-line block ×10, first 2 shown]
	v_mov_b32_e32 v57, v53
	v_fma_f32 v53, v27, s9, -v53
	v_fmac_f32_e32 v56, 0x3f52af12, v29
	v_fmac_f32_e32 v57, 0xbeb58ec6, v27
	v_mul_f32_e32 v60, 0xbeb58ec6, v52
	v_add_f32_e32 v53, v53, v62
	v_mul_f32_e32 v62, 0xbe750f2a, v24
	v_add_f32_e32 v56, v56, v61
	v_add_f32_e32 v57, v57, v63
	v_mov_b32_e32 v61, v60
	v_fmac_f32_e32 v60, 0xbf6f5d39, v29
	v_mov_b32_e32 v63, v62
	v_fma_f32 v62, v27, s11, -v62
	v_fmac_f32_e32 v61, 0x3f6f5d39, v29
	v_add_f32_e32 v60, v60, v64
	v_fmac_f32_e32 v63, 0xbf788fa5, v27
	v_mul_f32_e32 v64, 0xbf788fa5, v52
	v_add_f32_e32 v62, v62, v66
	v_mul_f32_e32 v66, 0x3f29c268, v24
	v_add_f32_e32 v61, v61, v65
	v_add_f32_e32 v63, v63, v67
	v_mov_b32_e32 v65, v64
	v_fmac_f32_e32 v64, 0xbe750f2a, v29
	v_mov_b32_e32 v67, v66
	v_fma_f32 v66, v27, s10, -v66
	v_fmac_f32_e32 v65, 0x3e750f2a, v29
	v_add_f32_e32 v64, v64, v68
	v_fmac_f32_e32 v67, 0xbf3f9e67, v27
	v_mul_f32_e32 v68, 0xbf3f9e67, v52
	v_add_f32_e32 v66, v66, v70
	v_mul_f32_e32 v70, 0x3f7e222b, v24
	v_add_f32_e32 v65, v65, v69
	v_add_f32_e32 v67, v67, v71
	v_mov_b32_e32 v69, v68
	v_fmac_f32_e32 v68, 0x3f29c268, v29
	v_mov_b32_e32 v71, v70
	v_fmac_f32_e32 v69, 0xbf29c268, v29
	v_add_f32_e32 v68, v68, v72
	v_fmac_f32_e32 v71, 0x3df6dbef, v27
	v_mul_f32_e32 v72, 0x3df6dbef, v52
	v_fma_f32 v70, v27, s2, -v70
	v_mul_f32_e32 v24, 0x3eedf032, v24
	v_mul_f32_e32 v52, 0x3f62ad3f, v52
	v_add_f32_e32 v69, v69, v73
	v_add_f32_e32 v71, v71, v75
	v_mov_b32_e32 v73, v72
	v_add_f32_e32 v70, v70, v74
	v_mov_b32_e32 v74, v24
	v_mov_b32_e32 v75, v52
	v_fma_f32 v24, v27, s8, -v24
	v_fmac_f32_e32 v73, 0xbf7e222b, v29
	v_fmac_f32_e32 v72, 0x3f7e222b, v29
	;; [unrolled: 1-line block ×3, first 2 shown]
	v_add_f32_e32 v24, v24, v26
	v_fmac_f32_e32 v52, 0x3eedf032, v29
	v_add_f32_e32 v26, v31, v33
	v_sub_f32_e32 v29, v31, v33
	v_sub_f32_e32 v31, v58, v34
	v_mul_f32_e32 v33, 0xbf7e222b, v31
	v_fmac_f32_e32 v74, 0x3f62ad3f, v27
	v_add_f32_e32 v27, v58, v34
	v_mov_b32_e32 v34, v33
	v_fmac_f32_e32 v34, 0x3df6dbef, v26
	v_add_f32_e32 v34, v34, v35
	v_mul_f32_e32 v35, 0x3df6dbef, v27
	v_fma_f32 v33, v26, s2, -v33
	v_add_f32_e32 v25, v52, v25
	v_mov_b32_e32 v52, v35
	v_add_f32_e32 v28, v33, v28
	v_fmac_f32_e32 v35, 0xbf7e222b, v29
	v_mul_f32_e32 v33, 0xbe750f2a, v31
	v_fmac_f32_e32 v52, 0x3f7e222b, v29
	v_add_f32_e32 v30, v35, v30
	v_mov_b32_e32 v35, v33
	v_add_f32_e32 v52, v52, v56
	v_fmac_f32_e32 v35, 0xbf788fa5, v26
	v_mul_f32_e32 v56, 0xbf788fa5, v27
	v_add_f32_e32 v35, v35, v57
	v_mov_b32_e32 v57, v56
	v_fma_f32 v33, v26, s11, -v33
	v_fmac_f32_e32 v56, 0xbe750f2a, v29
	v_add_f32_e32 v33, v33, v53
	v_add_f32_e32 v53, v56, v60
	v_mul_f32_e32 v56, 0x3f6f5d39, v31
	v_mov_b32_e32 v58, v56
	v_fma_f32 v56, v26, s9, -v56
	v_fmac_f32_e32 v57, 0x3e750f2a, v29
	v_fmac_f32_e32 v58, 0xbeb58ec6, v26
	v_mul_f32_e32 v60, 0xbeb58ec6, v27
	v_add_f32_e32 v56, v56, v62
	v_mul_f32_e32 v62, 0x3eedf032, v31
	v_add_f32_e32 v57, v57, v61
	v_add_f32_e32 v58, v58, v63
	v_mov_b32_e32 v61, v60
	v_fmac_f32_e32 v60, 0x3f6f5d39, v29
	v_mov_b32_e32 v63, v62
	v_fma_f32 v62, v26, s8, -v62
	v_fmac_f32_e32 v61, 0xbf6f5d39, v29
	v_add_f32_e32 v60, v60, v64
	v_fmac_f32_e32 v63, 0x3f62ad3f, v26
	v_mul_f32_e32 v64, 0x3f62ad3f, v27
	v_add_f32_e32 v62, v62, v66
	v_mul_f32_e32 v66, 0xbf52af12, v31
	v_add_f32_e32 v61, v61, v65
	v_add_f32_e32 v63, v63, v67
	v_mov_b32_e32 v65, v64
	v_fmac_f32_e32 v64, 0x3eedf032, v29
	v_mov_b32_e32 v67, v66
	v_add_f32_e32 v64, v64, v68
	v_fmac_f32_e32 v67, 0x3f116cb1, v26
	v_mul_f32_e32 v68, 0x3f116cb1, v27
	v_mul_f32_e32 v27, 0xbf3f9e67, v27
	v_fmac_f32_e32 v65, 0xbeedf032, v29
	v_add_f32_e32 v67, v67, v71
	v_fma_f32 v66, v26, s3, -v66
	v_mul_f32_e32 v31, 0xbf29c268, v31
	v_mov_b32_e32 v71, v27
	v_fmac_f32_e32 v27, 0xbf29c268, v29
	v_add_f32_e32 v65, v65, v69
	v_mov_b32_e32 v69, v68
	v_add_f32_e32 v66, v66, v70
	v_mov_b32_e32 v70, v31
	v_add_f32_e32 v25, v27, v25
	v_add_f32_e32 v27, v22, v32
	v_sub_f32_e32 v22, v22, v32
	v_fmac_f32_e32 v69, 0x3f52af12, v29
	v_fmac_f32_e32 v68, 0xbf52af12, v29
	;; [unrolled: 1-line block ×4, first 2 shown]
	v_fma_f32 v26, v26, s10, -v31
	v_mul_f32_e32 v29, 0xbf6f5d39, v22
	v_add_f32_e32 v24, v26, v24
	v_add_f32_e32 v26, v59, v15
	v_mov_b32_e32 v31, v29
	v_sub_f32_e32 v15, v59, v15
	v_fmac_f32_e32 v31, 0xbeb58ec6, v26
	v_mul_f32_e32 v32, 0xbeb58ec6, v27
	v_add_f32_e32 v31, v31, v34
	v_mov_b32_e32 v34, v32
	v_fma_f32 v29, v26, s9, -v29
	v_fmac_f32_e32 v32, 0xbf6f5d39, v15
	v_add_f32_e32 v28, v29, v28
	v_add_f32_e32 v29, v32, v30
	v_mul_f32_e32 v30, 0x3f29c268, v22
	v_mov_b32_e32 v32, v30
	v_fmac_f32_e32 v32, 0xbf3f9e67, v26
	v_fmac_f32_e32 v34, 0x3f6f5d39, v15
	v_add_f32_e32 v32, v32, v35
	v_mul_f32_e32 v35, 0xbf3f9e67, v27
	v_add_f32_e32 v34, v34, v52
	v_mov_b32_e32 v52, v35
	v_fma_f32 v30, v26, s10, -v30
	v_fmac_f32_e32 v35, 0x3f29c268, v15
	v_add_f32_e32 v30, v30, v33
	v_add_f32_e32 v33, v35, v53
	v_mul_f32_e32 v35, 0x3eedf032, v22
	v_fmac_f32_e32 v52, 0xbf29c268, v15
	v_mov_b32_e32 v53, v35
	v_add_f32_e32 v52, v52, v57
	v_fmac_f32_e32 v53, 0x3f62ad3f, v26
	v_mul_f32_e32 v57, 0x3f62ad3f, v27
	v_add_f32_e32 v53, v53, v58
	v_mov_b32_e32 v58, v57
	v_fma_f32 v35, v26, s8, -v35
	v_fmac_f32_e32 v57, 0x3eedf032, v15
	v_add_f32_e32 v35, v35, v56
	v_add_f32_e32 v56, v57, v60
	v_mul_f32_e32 v57, 0xbf7e222b, v22
	v_mov_b32_e32 v59, v57
	v_fma_f32 v57, v26, s2, -v57
	v_fmac_f32_e32 v58, 0xbeedf032, v15
	v_fmac_f32_e32 v59, 0x3df6dbef, v26
	v_mul_f32_e32 v60, 0x3df6dbef, v27
	v_add_f32_e32 v57, v57, v62
	v_mul_f32_e32 v62, 0x3e750f2a, v22
	v_add_f32_e32 v58, v58, v61
	v_add_f32_e32 v59, v59, v63
	v_mov_b32_e32 v61, v60
	v_fmac_f32_e32 v60, 0xbf7e222b, v15
	v_mov_b32_e32 v63, v62
	v_fmac_f32_e32 v61, 0x3f7e222b, v15
	v_add_f32_e32 v60, v60, v64
	v_fmac_f32_e32 v63, 0xbf788fa5, v26
	v_mul_f32_e32 v64, 0xbf788fa5, v27
	v_mul_f32_e32 v27, 0x3f116cb1, v27
	v_add_f32_e32 v61, v61, v65
	v_add_f32_e32 v63, v63, v67
	v_mov_b32_e32 v65, v64
	v_fma_f32 v62, v26, s11, -v62
	v_mul_f32_e32 v22, 0x3f52af12, v22
	v_mov_b32_e32 v67, v27
	v_fmac_f32_e32 v27, 0x3f52af12, v15
	v_fmac_f32_e32 v65, 0xbe750f2a, v15
	v_add_f32_e32 v62, v62, v66
	v_fmac_f32_e32 v64, 0x3e750f2a, v15
	v_mov_b32_e32 v66, v22
	v_fmac_f32_e32 v67, 0xbf52af12, v15
	v_fma_f32 v22, v26, s3, -v22
	v_add_f32_e32 v15, v27, v25
	v_add_f32_e32 v25, v16, v14
	v_sub_f32_e32 v14, v16, v14
	v_add_f32_e32 v22, v22, v24
	v_add_f32_e32 v24, v23, v13
	v_mul_f32_e32 v16, 0xbf29c268, v14
	v_fmac_f32_e32 v66, 0x3f116cb1, v26
	v_sub_f32_e32 v13, v23, v13
	v_mov_b32_e32 v23, v16
	v_mul_f32_e32 v26, 0xbf3f9e67, v25
	v_fma_f32 v16, v24, s10, -v16
	v_mov_b32_e32 v27, v26
	v_add_f32_e32 v16, v16, v28
	v_fmac_f32_e32 v26, 0xbf29c268, v13
	v_mul_f32_e32 v28, 0x3f7e222b, v14
	v_fmac_f32_e32 v23, 0xbf3f9e67, v24
	v_add_f32_e32 v26, v26, v29
	v_mov_b32_e32 v29, v28
	v_add_f32_e32 v23, v23, v31
	v_fmac_f32_e32 v29, 0x3df6dbef, v24
	v_mul_f32_e32 v31, 0x3df6dbef, v25
	v_fmac_f32_e32 v27, 0x3f29c268, v13
	v_add_f32_e32 v29, v29, v32
	v_mov_b32_e32 v32, v31
	v_fma_f32 v28, v24, s2, -v28
	v_fmac_f32_e32 v31, 0x3f7e222b, v13
	v_add_f32_e32 v27, v27, v34
	v_fmac_f32_e32 v32, 0xbf7e222b, v13
	v_add_f32_e32 v28, v28, v30
	v_add_f32_e32 v30, v31, v33
	v_mul_f32_e32 v31, 0xbf52af12, v14
	v_mul_f32_e32 v34, 0x3f116cb1, v25
	v_add_f32_e32 v32, v32, v52
	v_mov_b32_e32 v33, v31
	v_mov_b32_e32 v52, v34
	v_fma_f32 v31, v24, s3, -v31
	v_fmac_f32_e32 v52, 0x3f52af12, v13
	v_add_f32_e32 v31, v31, v35
	v_mul_f32_e32 v35, 0x3e750f2a, v14
	v_add_f32_e32 v58, v52, v58
	v_mov_b32_e32 v52, v35
	v_fmac_f32_e32 v34, 0xbf52af12, v13
	v_fmac_f32_e32 v52, 0xbf788fa5, v24
	v_fmac_f32_e32 v33, 0x3f116cb1, v24
	v_add_f32_e32 v34, v34, v56
	v_add_f32_e32 v56, v52, v59
	v_mul_f32_e32 v52, 0xbf788fa5, v25
	v_add_f32_e32 v33, v33, v53
	v_mov_b32_e32 v53, v52
	v_fma_f32 v35, v24, s11, -v35
	v_fmac_f32_e32 v52, 0x3e750f2a, v13
	v_fmac_f32_e32 v53, 0xbe750f2a, v13
	v_add_f32_e32 v35, v35, v57
	v_add_f32_e32 v57, v52, v60
	v_mul_f32_e32 v52, 0x3eedf032, v14
	v_add_f32_e32 v59, v53, v61
	v_mov_b32_e32 v53, v52
	v_add_f32_e32 v72, v72, v76
	v_add_f32_e32 v74, v74, v78
	;; [unrolled: 1-line block ×3, first 2 shown]
	v_fmac_f32_e32 v53, 0x3f62ad3f, v24
	v_fma_f32 v52, v24, s8, -v52
	v_mul_f32_e32 v14, 0xbf6f5d39, v14
	v_add_f32_e32 v73, v73, v77
	v_add_f32_e32 v68, v68, v72
	;; [unrolled: 1-line block ×5, first 2 shown]
	v_mul_f32_e32 v53, 0x3f62ad3f, v25
	v_add_f32_e32 v62, v52, v62
	v_mov_b32_e32 v52, v14
	v_add_f32_e32 v69, v69, v73
	v_add_f32_e32 v64, v64, v68
	;; [unrolled: 1-line block ×4, first 2 shown]
	v_mov_b32_e32 v61, v53
	v_fmac_f32_e32 v53, 0x3eedf032, v13
	v_fmac_f32_e32 v52, 0xbeb58ec6, v24
	v_mul_f32_e32 v25, 0xbeb58ec6, v25
	v_sub_f32_e32 v71, v18, v12
	v_add_f32_e32 v65, v65, v69
	v_add_f32_e32 v63, v53, v64
	;; [unrolled: 1-line block ×3, first 2 shown]
	v_mov_b32_e32 v52, v25
	v_add_f32_e32 v69, v18, v12
	v_mul_f32_e32 v12, 0xbe750f2a, v71
	v_fmac_f32_e32 v61, 0xbeedf032, v13
	v_fmac_f32_e32 v52, 0x3f6f5d39, v13
	;; [unrolled: 1-line block ×3, first 2 shown]
	v_add_f32_e32 v68, v17, v19
	v_mov_b32_e32 v13, v12
	v_fma_f32 v14, v24, s9, -v14
	v_fmac_f32_e32 v13, 0xbf788fa5, v68
	v_add_f32_e32 v66, v14, v22
	v_sub_f32_e32 v70, v17, v19
	v_add_f32_e32 v22, v13, v23
	v_mul_f32_e32 v13, 0xbf788fa5, v69
	v_fma_f32 v12, v68, s11, -v12
	v_add_f32_e32 v61, v61, v65
	v_add_f32_e32 v65, v52, v67
	v_mov_b32_e32 v14, v13
	v_add_f32_e32 v52, v12, v16
	v_fmac_f32_e32 v13, 0xbe750f2a, v70
	v_mul_f32_e32 v12, 0x3eedf032, v71
	v_add_f32_e32 v53, v13, v26
	v_mov_b32_e32 v13, v12
	v_fmac_f32_e32 v13, 0x3f62ad3f, v68
	v_fmac_f32_e32 v14, 0x3e750f2a, v70
	v_add_f32_e32 v24, v13, v29
	v_mul_f32_e32 v13, 0x3f62ad3f, v69
	v_fma_f32 v12, v68, s8, -v12
	v_add_f32_e32 v23, v14, v27
	v_mov_b32_e32 v14, v13
	v_add_f32_e32 v18, v12, v28
	v_fmac_f32_e32 v13, 0x3eedf032, v70
	v_mul_f32_e32 v12, 0xbf29c268, v71
	v_add_f32_e32 v19, v13, v30
	v_mov_b32_e32 v13, v12
	v_fmac_f32_e32 v13, 0xbf3f9e67, v68
	v_fmac_f32_e32 v14, 0xbeedf032, v70
	v_add_f32_e32 v26, v13, v33
	v_mul_f32_e32 v13, 0xbf3f9e67, v69
	v_fma_f32 v12, v68, s10, -v12
	v_add_f32_e32 v67, v25, v15
	v_add_f32_e32 v25, v14, v32
	v_mov_b32_e32 v14, v13
	v_add_f32_e32 v16, v12, v31
	v_fmac_f32_e32 v13, 0xbf29c268, v70
	v_mul_f32_e32 v12, 0x3f52af12, v71
	v_add_f32_e32 v17, v13, v34
	v_mov_b32_e32 v13, v12
	v_fmac_f32_e32 v13, 0x3f116cb1, v68
	v_fmac_f32_e32 v14, 0x3f29c268, v70
	v_add_f32_e32 v28, v13, v56
	v_mul_f32_e32 v13, 0x3f116cb1, v69
	v_add_f32_e32 v27, v14, v58
	v_mov_b32_e32 v14, v13
	v_fmac_f32_e32 v14, 0xbf52af12, v70
	v_fma_f32 v12, v68, s3, -v12
	v_add_f32_e32 v29, v14, v59
	v_add_f32_e32 v14, v12, v35
	v_fmac_f32_e32 v13, 0x3f52af12, v70
	v_mul_f32_e32 v12, 0xbf6f5d39, v71
	v_add_f32_e32 v15, v13, v57
	v_mov_b32_e32 v13, v12
	v_fmac_f32_e32 v13, 0xbeb58ec6, v68
	v_add_f32_e32 v30, v13, v60
	v_mul_f32_e32 v13, 0xbeb58ec6, v69
	v_mul_f32_e32 v34, 0x3f7e222b, v71
	;; [unrolled: 1-line block ×3, first 2 shown]
	v_mov_b32_e32 v31, v13
	v_mov_b32_e32 v32, v34
	;; [unrolled: 1-line block ×3, first 2 shown]
	v_fmac_f32_e32 v31, 0x3f6f5d39, v70
	v_fmac_f32_e32 v32, 0x3df6dbef, v68
	;; [unrolled: 1-line block ×3, first 2 shown]
	v_fma_f32 v34, v68, s2, -v34
	v_fmac_f32_e32 v35, 0x3f7e222b, v70
	v_add_f32_e32 v31, v31, v61
	v_fma_f32 v12, v68, s9, -v12
	v_fmac_f32_e32 v13, 0xbf6f5d39, v70
	v_add_f32_e32 v32, v32, v64
	v_add_f32_e32 v33, v33, v65
	;; [unrolled: 1-line block ×4, first 2 shown]
	v_add_u32_e32 v58, 0xd00, v98
	v_add_u32_e32 v57, 0x1b00, v98
	;; [unrolled: 1-line block ×3, first 2 shown]
	v_add_f32_e32 v12, v12, v62
	v_add_f32_e32 v13, v13, v63
	s_barrier
	ds_write2_b64 v99, v[20:21], v[22:23] offset1:17
	ds_write2_b64 v99, v[24:25], v[26:27] offset0:34 offset1:51
	ds_write2_b64 v99, v[28:29], v[30:31] offset0:68 offset1:85
	;; [unrolled: 1-line block ×5, first 2 shown]
	ds_write_b64 v99, v[52:53] offset:1632
	s_waitcnt lgkmcnt(0)
	s_barrier
	ds_read2_b64 v[20:23], v98 offset1:221
	ds_read2_b64 v[32:35], v58 offset0:26 offset1:247
	ds_read2_b64 v[28:31], v57 offset0:20 offset1:241
	;; [unrolled: 1-line block ×3, first 2 shown]
	s_and_saveexec_b64 s[2:3], s[0:1]
	s_cbranch_execz .LBB0_19
; %bb.18:
	v_add_u32_e32 v48, 0x1f00, v98
	v_add_u32_e32 v12, 0x400, v98
	;; [unrolled: 1-line block ×3, first 2 shown]
	ds_read2_b64 v[52:55], v48 offset0:28 offset1:249
	v_add_u32_e32 v48, 0x2d00, v98
	ds_read2_b64 v[12:15], v12 offset0:8 offset1:229
	ds_read2_b64 v[16:19], v16 offset0:2 offset1:223
	;; [unrolled: 1-line block ×3, first 2 shown]
.LBB0_19:
	s_or_b64 exec, exec, s[2:3]
	s_waitcnt lgkmcnt(3)
	v_mul_f32_e32 v59, v41, v23
	v_fmac_f32_e32 v59, v40, v22
	v_mul_f32_e32 v22, v41, v22
	v_fma_f32 v22, v40, v23, -v22
	s_waitcnt lgkmcnt(2)
	v_mul_f32_e32 v23, v43, v33
	v_fmac_f32_e32 v23, v42, v32
	v_mul_f32_e32 v32, v43, v32
	v_fma_f32 v32, v42, v33, -v32
	v_mul_f32_e32 v33, v37, v35
	v_fmac_f32_e32 v33, v36, v34
	v_mul_f32_e32 v34, v37, v34
	v_fma_f32 v34, v36, v35, -v34
	s_waitcnt lgkmcnt(1)
	v_mul_f32_e32 v35, v39, v29
	v_fmac_f32_e32 v35, v38, v28
	v_mul_f32_e32 v28, v39, v28
	v_fma_f32 v28, v38, v29, -v28
	v_mul_f32_e32 v29, v45, v31
	v_fmac_f32_e32 v29, v44, v30
	v_mul_f32_e32 v30, v45, v30
	v_fma_f32 v30, v44, v31, -v30
	s_waitcnt lgkmcnt(0)
	v_mul_f32_e32 v31, v47, v25
	v_fmac_f32_e32 v31, v46, v24
	v_mul_f32_e32 v24, v47, v24
	v_fma_f32 v24, v46, v25, -v24
	v_mul_f32_e32 v25, v94, v27
	v_fmac_f32_e32 v25, v93, v26
	v_mul_f32_e32 v26, v94, v26
	v_fma_f32 v26, v93, v27, -v26
	v_sub_f32_e32 v27, v20, v35
	v_sub_f32_e32 v31, v23, v31
	;; [unrolled: 1-line block ×5, first 2 shown]
	v_fma_f32 v20, v20, 2.0, -v27
	v_sub_f32_e32 v24, v32, v24
	v_fma_f32 v23, v23, 2.0, -v31
	v_sub_f32_e32 v30, v22, v30
	;; [unrolled: 2-line block ×3, first 2 shown]
	v_fma_f32 v33, v33, 2.0, -v25
	v_fma_f32 v22, v22, 2.0, -v30
	;; [unrolled: 1-line block ×3, first 2 shown]
	v_sub_f32_e32 v36, v20, v23
	v_add_f32_e32 v38, v27, v24
	v_sub_f32_e32 v39, v28, v31
	v_sub_f32_e32 v31, v35, v33
	v_fma_f32 v21, v21, 2.0, -v28
	v_fma_f32 v23, v20, 2.0, -v36
	;; [unrolled: 1-line block ×4, first 2 shown]
	v_sub_f32_e32 v33, v22, v34
	v_fma_f32 v20, v35, 2.0, -v31
	v_add_f32_e32 v34, v29, v26
	v_sub_f32_e32 v35, v30, v25
	v_fma_f32 v32, v32, 2.0, -v24
	v_fma_f32 v26, v29, 2.0, -v34
	;; [unrolled: 1-line block ×3, first 2 shown]
	v_mov_b32_e32 v24, v27
	v_mov_b32_e32 v25, v28
	v_sub_f32_e32 v32, v21, v32
	v_fmac_f32_e32 v24, 0xbf3504f3, v26
	v_fmac_f32_e32 v25, 0xbf3504f3, v29
	;; [unrolled: 1-line block ×4, first 2 shown]
	v_sub_f32_e32 v29, v32, v31
	v_fma_f32 v37, v21, 2.0, -v32
	v_fma_f32 v21, v22, 2.0, -v33
	;; [unrolled: 1-line block ×4, first 2 shown]
	v_add_f32_e32 v28, v36, v33
	v_fma_f32 v31, v32, 2.0, -v29
	v_mov_b32_e32 v32, v38
	v_mov_b32_e32 v33, v39
	v_sub_f32_e32 v20, v23, v20
	v_sub_f32_e32 v21, v37, v21
	v_fmac_f32_e32 v32, 0x3f3504f3, v34
	v_fmac_f32_e32 v33, 0x3f3504f3, v35
	v_fma_f32 v22, v23, 2.0, -v20
	v_fma_f32 v23, v37, 2.0, -v21
	v_fmac_f32_e32 v32, 0x3f3504f3, v35
	v_fmac_f32_e32 v33, 0xbf3504f3, v34
	v_fma_f32 v30, v36, 2.0, -v28
	v_fma_f32 v34, v38, 2.0, -v32
	;; [unrolled: 1-line block ×3, first 2 shown]
	ds_write2_b64 v98, v[22:23], v[26:27] offset1:221
	ds_write2_b64 v58, v[30:31], v[34:35] offset0:26 offset1:247
	ds_write2_b64 v57, v[20:21], v[24:25] offset0:20 offset1:241
	;; [unrolled: 1-line block ×3, first 2 shown]
	s_and_saveexec_b64 s[2:3], s[0:1]
	s_cbranch_execz .LBB0_21
; %bb.20:
	v_mul_f32_e32 v20, v3, v52
	v_fma_f32 v20, v2, v53, -v20
	v_mul_f32_e32 v27, v1, v19
	v_mul_f32_e32 v1, v1, v18
	v_sub_f32_e32 v21, v13, v20
	v_mul_f32_e32 v22, v11, v17
	v_mul_f32_e32 v20, v7, v49
	v_fmac_f32_e32 v27, v0, v18
	v_fma_f32 v18, v0, v19, -v1
	v_mul_f32_e32 v0, v92, v50
	v_fmac_f32_e32 v22, v10, v16
	v_fmac_f32_e32 v20, v6, v48
	v_fma_f32 v0, v91, v51, -v0
	v_sub_f32_e32 v23, v22, v20
	v_mul_f32_e32 v20, v9, v14
	v_sub_f32_e32 v30, v18, v0
	v_mul_f32_e32 v9, v9, v15
	v_mul_f32_e32 v0, v5, v55
	v_fmac_f32_e32 v9, v8, v14
	v_fmac_f32_e32 v0, v4, v54
	v_fma_f32 v25, v8, v15, -v20
	v_mul_f32_e32 v20, v5, v54
	v_sub_f32_e32 v8, v9, v0
	v_mul_f32_e32 v0, v11, v16
	v_fma_f32 v20, v4, v55, -v20
	v_fma_f32 v4, v10, v17, -v0
	v_mul_f32_e32 v0, v7, v48
	v_fma_f32 v0, v6, v49, -v0
	v_sub_f32_e32 v5, v4, v0
	v_mul_f32_e32 v0, v3, v53
	v_fmac_f32_e32 v0, v2, v52
	v_sub_f32_e32 v26, v25, v20
	v_mul_f32_e32 v20, v92, v51
	v_sub_f32_e32 v6, v12, v0
	v_fmac_f32_e32 v20, v91, v50
	v_add_f32_e32 v10, v5, v6
	v_sub_f32_e32 v28, v27, v20
	v_add_f32_e32 v14, v30, v8
	v_mov_b32_e32 v19, v10
	v_sub_f32_e32 v29, v26, v28
	v_fmac_f32_e32 v19, 0x3f3504f3, v14
	v_fmac_f32_e32 v19, 0x3f3504f3, v29
	v_fma_f32 v11, v13, 2.0, -v21
	v_fma_f32 v2, v4, 2.0, -v5
	v_sub_f32_e32 v24, v21, v23
	v_fma_f32 v0, v10, 2.0, -v19
	v_sub_f32_e32 v13, v11, v2
	v_fma_f32 v15, v9, 2.0, -v8
	v_fma_f32 v2, v27, 2.0, -v28
	;; [unrolled: 1-line block ×3, first 2 shown]
	v_sub_f32_e32 v16, v15, v2
	v_fma_f32 v12, v12, 2.0, -v6
	v_fma_f32 v2, v22, 2.0, -v23
	v_fma_f32 v9, v21, 2.0, -v24
	v_fma_f32 v8, v8, 2.0, -v14
	v_mov_b32_e32 v6, v10
	v_sub_f32_e32 v17, v12, v2
	v_fma_f32 v22, v25, 2.0, -v26
	v_fma_f32 v2, v18, 2.0, -v30
	;; [unrolled: 1-line block ×3, first 2 shown]
	v_mov_b32_e32 v7, v9
	v_fmac_f32_e32 v6, 0xbf3504f3, v8
	v_sub_f32_e32 v18, v22, v2
	v_fmac_f32_e32 v7, 0xbf3504f3, v21
	v_fmac_f32_e32 v6, 0x3f3504f3, v21
	v_fmac_f32_e32 v7, 0xbf3504f3, v8
	v_fma_f32 v8, v10, 2.0, -v6
	v_fma_f32 v10, v11, 2.0, -v13
	;; [unrolled: 1-line block ×3, first 2 shown]
	v_sub_f32_e32 v3, v13, v16
	v_sub_f32_e32 v11, v10, v11
	v_mov_b32_e32 v20, v24
	v_fma_f32 v5, v13, 2.0, -v3
	v_fma_f32 v13, v10, 2.0, -v11
	;; [unrolled: 1-line block ×4, first 2 shown]
	v_fmac_f32_e32 v20, 0x3f3504f3, v29
	v_sub_f32_e32 v10, v12, v10
	v_fmac_f32_e32 v20, 0xbf3504f3, v14
	v_add_f32_e32 v2, v17, v18
	v_fma_f32 v9, v9, 2.0, -v7
	v_fma_f32 v12, v12, 2.0, -v10
	v_add_u32_e32 v14, 0x400, v98
	v_fma_f32 v1, v24, 2.0, -v20
	v_fma_f32 v4, v17, 2.0, -v2
	ds_write2_b64 v14, v[12:13], v[8:9] offset0:8 offset1:229
	v_add_u32_e32 v8, 0x1200, v98
	ds_write2_b64 v8, v[4:5], v[0:1] offset0:2 offset1:223
	v_add_u32_e32 v0, 0x1f00, v98
	;; [unrolled: 2-line block ×3, first 2 shown]
	ds_write2_b64 v0, v[2:3], v[19:20] offset0:22 offset1:243
.LBB0_21:
	s_or_b64 exec, exec, s[2:3]
	s_waitcnt lgkmcnt(0)
	s_barrier
	s_and_b64 exec, exec, vcc
	s_cbranch_execz .LBB0_23
; %bb.22:
	global_load_dwordx2 v[0:1], v98, s[12:13]
	ds_read_b64 v[2:3], v98
	v_mad_u64_u32 v[4:5], s[0:1], s6, v180, 0
	v_mad_u64_u32 v[6:7], s[0:1], s4, v196, 0
	s_mov_b32 s0, 0x1288b013
	s_mov_b32 s1, 0x3f4288b0
	v_mad_u64_u32 v[8:9], s[2:3], s7, v180, v[5:6]
	v_mov_b32_e32 v11, s15
	s_mul_hi_u32 s6, s4, 0x340
	v_mad_u64_u32 v[9:10], s[2:3], s5, v196, v[7:8]
	s_mul_i32 s3, s5, 0x340
	s_mul_i32 s2, s4, 0x340
	v_mov_b32_e32 v7, v9
	s_add_i32 s3, s6, s3
	s_movk_i32 s6, 0x1000
	s_waitcnt vmcnt(0) lgkmcnt(0)
	v_mul_f32_e32 v5, v3, v1
	v_mul_f32_e32 v1, v2, v1
	v_fmac_f32_e32 v5, v2, v0
	v_fma_f32 v2, v0, v3, -v1
	v_cvt_f64_f32_e32 v[0:1], v5
	v_cvt_f64_f32_e32 v[2:3], v2
	v_mov_b32_e32 v5, v8
	v_mul_f64 v[8:9], v[0:1], s[0:1]
	v_mul_f64 v[2:3], v[2:3], s[0:1]
	v_lshlrev_b64 v[0:1], 3, v[4:5]
	v_lshlrev_b64 v[4:5], 3, v[6:7]
	v_add_co_u32_e32 v0, vcc, s14, v0
	v_addc_co_u32_e32 v1, vcc, v11, v1, vcc
	v_cvt_f32_f64_e32 v6, v[8:9]
	v_cvt_f32_f64_e32 v7, v[2:3]
	v_add_co_u32_e32 v8, vcc, v0, v4
	v_addc_co_u32_e32 v9, vcc, v1, v5, vcc
	global_store_dwordx2 v[8:9], v[6:7], off
	global_load_dwordx2 v[6:7], v98, s[12:13] offset:832
	ds_read2_b64 v[2:5], v98 offset0:104 offset1:208
	s_waitcnt vmcnt(0) lgkmcnt(0)
	v_mul_f32_e32 v10, v3, v7
	v_mul_f32_e32 v7, v2, v7
	v_fmac_f32_e32 v10, v2, v6
	v_fma_f32 v6, v6, v3, -v7
	v_cvt_f64_f32_e32 v[2:3], v10
	v_cvt_f64_f32_e32 v[6:7], v6
	v_mov_b32_e32 v10, s3
	v_mul_f64 v[2:3], v[2:3], s[0:1]
	v_mul_f64 v[6:7], v[6:7], s[0:1]
	v_cvt_f32_f64_e32 v2, v[2:3]
	v_cvt_f32_f64_e32 v3, v[6:7]
	v_add_co_u32_e32 v6, vcc, s2, v8
	v_addc_co_u32_e32 v7, vcc, v9, v10, vcc
	global_store_dwordx2 v[6:7], v[2:3], off
	global_load_dwordx2 v[2:3], v98, s[12:13] offset:1664
	v_add_co_u32_e32 v6, vcc, s2, v6
	s_waitcnt vmcnt(0)
	v_mul_f32_e32 v8, v5, v3
	v_mul_f32_e32 v3, v4, v3
	v_fmac_f32_e32 v8, v4, v2
	v_fma_f32 v4, v2, v5, -v3
	v_cvt_f64_f32_e32 v[2:3], v8
	v_cvt_f64_f32_e32 v[4:5], v4
	v_mov_b32_e32 v8, s3
	v_addc_co_u32_e32 v7, vcc, v7, v8, vcc
	v_mul_f64 v[2:3], v[2:3], s[0:1]
	v_mul_f64 v[4:5], v[4:5], s[0:1]
	v_cvt_f32_f64_e32 v2, v[2:3]
	v_cvt_f32_f64_e32 v3, v[4:5]
	global_store_dwordx2 v[6:7], v[2:3], off
	global_load_dwordx2 v[8:9], v98, s[12:13] offset:2496
	v_add_u32_e32 v2, 0x800, v98
	ds_read2_b64 v[2:5], v2 offset0:56 offset1:160
	v_add_co_u32_e32 v6, vcc, s2, v6
	s_waitcnt vmcnt(0) lgkmcnt(0)
	v_mul_f32_e32 v10, v3, v9
	v_mul_f32_e32 v9, v2, v9
	v_fmac_f32_e32 v10, v2, v8
	v_fma_f32 v8, v8, v3, -v9
	v_cvt_f64_f32_e32 v[2:3], v10
	v_cvt_f64_f32_e32 v[8:9], v8
	v_mov_b32_e32 v10, s3
	v_addc_co_u32_e32 v7, vcc, v7, v10, vcc
	v_mul_f64 v[2:3], v[2:3], s[0:1]
	v_mul_f64 v[8:9], v[8:9], s[0:1]
	v_add_co_u32_e32 v12, vcc, s12, v98
	v_cvt_f32_f64_e32 v2, v[2:3]
	v_cvt_f32_f64_e32 v3, v[8:9]
	global_store_dwordx2 v[6:7], v[2:3], off
	global_load_dwordx2 v[2:3], v98, s[12:13] offset:3328
	s_waitcnt vmcnt(0)
	v_mul_f32_e32 v8, v5, v3
	v_mul_f32_e32 v3, v4, v3
	v_fmac_f32_e32 v8, v4, v2
	v_fma_f32 v4, v2, v5, -v3
	v_cvt_f64_f32_e32 v[2:3], v8
	v_cvt_f64_f32_e32 v[4:5], v4
	v_mov_b32_e32 v8, s13
	v_addc_co_u32_e32 v13, vcc, 0, v8, vcc
	v_mul_f64 v[2:3], v[2:3], s[0:1]
	v_mul_f64 v[4:5], v[4:5], s[0:1]
	v_add_co_u32_e32 v8, vcc, s6, v12
	v_addc_co_u32_e32 v9, vcc, 0, v13, vcc
	v_add_co_u32_e32 v6, vcc, s2, v6
	v_cvt_f32_f64_e32 v2, v[2:3]
	v_cvt_f32_f64_e32 v3, v[4:5]
	v_addc_co_u32_e32 v7, vcc, v7, v10, vcc
	s_movk_i32 s6, 0x2000
	global_store_dwordx2 v[6:7], v[2:3], off
	global_load_dwordx2 v[10:11], v[8:9], off offset:64
	v_add_u32_e32 v2, 0x1000, v98
	ds_read2_b64 v[2:5], v2 offset0:8 offset1:112
	v_add_co_u32_e32 v6, vcc, s2, v6
	s_waitcnt vmcnt(0) lgkmcnt(0)
	v_mul_f32_e32 v14, v3, v11
	v_mul_f32_e32 v11, v2, v11
	v_fmac_f32_e32 v14, v2, v10
	v_fma_f32 v10, v10, v3, -v11
	v_cvt_f64_f32_e32 v[2:3], v14
	v_cvt_f64_f32_e32 v[10:11], v10
	v_mov_b32_e32 v14, s3
	v_addc_co_u32_e32 v7, vcc, v7, v14, vcc
	v_mul_f64 v[2:3], v[2:3], s[0:1]
	v_mul_f64 v[10:11], v[10:11], s[0:1]
	v_cvt_f32_f64_e32 v2, v[2:3]
	v_cvt_f32_f64_e32 v3, v[10:11]
	global_store_dwordx2 v[6:7], v[2:3], off
	global_load_dwordx2 v[2:3], v[8:9], off offset:896
	v_add_co_u32_e32 v6, vcc, s2, v6
	s_waitcnt vmcnt(0)
	v_mul_f32_e32 v10, v5, v3
	v_mul_f32_e32 v3, v4, v3
	v_fmac_f32_e32 v10, v4, v2
	v_fma_f32 v4, v2, v5, -v3
	v_cvt_f64_f32_e32 v[2:3], v10
	v_cvt_f64_f32_e32 v[4:5], v4
	v_mov_b32_e32 v10, s3
	v_addc_co_u32_e32 v7, vcc, v7, v10, vcc
	v_mul_f64 v[2:3], v[2:3], s[0:1]
	v_mul_f64 v[4:5], v[4:5], s[0:1]
	v_cvt_f32_f64_e32 v2, v[2:3]
	v_cvt_f32_f64_e32 v3, v[4:5]
	global_store_dwordx2 v[6:7], v[2:3], off
	global_load_dwordx2 v[10:11], v[8:9], off offset:1728
	v_add_u32_e32 v2, 0x1400, v98
	ds_read2_b64 v[2:5], v2 offset0:88 offset1:192
	v_add_co_u32_e32 v6, vcc, s2, v6
	s_waitcnt vmcnt(0) lgkmcnt(0)
	v_mul_f32_e32 v14, v3, v11
	v_mul_f32_e32 v11, v2, v11
	v_fmac_f32_e32 v14, v2, v10
	v_fma_f32 v10, v10, v3, -v11
	v_cvt_f64_f32_e32 v[2:3], v14
	v_cvt_f64_f32_e32 v[10:11], v10
	v_mov_b32_e32 v14, s3
	v_addc_co_u32_e32 v7, vcc, v7, v14, vcc
	v_mul_f64 v[2:3], v[2:3], s[0:1]
	v_mul_f64 v[10:11], v[10:11], s[0:1]
	v_cvt_f32_f64_e32 v2, v[2:3]
	v_cvt_f32_f64_e32 v3, v[10:11]
	global_store_dwordx2 v[6:7], v[2:3], off
	global_load_dwordx2 v[2:3], v[8:9], off offset:2560
	v_add_co_u32_e32 v6, vcc, s2, v6
	s_waitcnt vmcnt(0)
	v_mul_f32_e32 v10, v5, v3
	v_mul_f32_e32 v3, v4, v3
	v_fmac_f32_e32 v10, v4, v2
	v_fma_f32 v4, v2, v5, -v3
	v_cvt_f64_f32_e32 v[2:3], v10
	v_cvt_f64_f32_e32 v[4:5], v4
	v_mov_b32_e32 v10, s3
	v_addc_co_u32_e32 v7, vcc, v7, v10, vcc
	v_mul_f64 v[2:3], v[2:3], s[0:1]
	v_mul_f64 v[4:5], v[4:5], s[0:1]
	v_cvt_f32_f64_e32 v2, v[2:3]
	v_cvt_f32_f64_e32 v3, v[4:5]
	global_store_dwordx2 v[6:7], v[2:3], off
	global_load_dwordx2 v[8:9], v[8:9], off offset:3392
	v_add_u32_e32 v2, 0x1c00, v98
	ds_read2_b64 v[2:5], v2 offset0:40 offset1:144
	s_waitcnt vmcnt(0) lgkmcnt(0)
	v_mul_f32_e32 v10, v3, v9
	v_mul_f32_e32 v9, v2, v9
	v_fmac_f32_e32 v10, v2, v8
	v_fma_f32 v8, v8, v3, -v9
	v_cvt_f64_f32_e32 v[2:3], v10
	v_cvt_f64_f32_e32 v[8:9], v8
	v_add_co_u32_e32 v10, vcc, s6, v12
	v_mul_f64 v[2:3], v[2:3], s[0:1]
	v_mul_f64 v[8:9], v[8:9], s[0:1]
	v_addc_co_u32_e32 v11, vcc, 0, v13, vcc
	v_add_co_u32_e32 v6, vcc, s2, v6
	v_addc_co_u32_e32 v7, vcc, v7, v14, vcc
	v_cvt_f32_f64_e32 v2, v[2:3]
	v_cvt_f32_f64_e32 v3, v[8:9]
	s_movk_i32 s6, 0x3000
	global_store_dwordx2 v[6:7], v[2:3], off
	global_load_dwordx2 v[2:3], v[10:11], off offset:128
	v_add_co_u32_e32 v6, vcc, s2, v6
	s_waitcnt vmcnt(0)
	v_mul_f32_e32 v8, v5, v3
	v_mul_f32_e32 v3, v4, v3
	v_fmac_f32_e32 v8, v4, v2
	v_fma_f32 v4, v2, v5, -v3
	v_cvt_f64_f32_e32 v[2:3], v8
	v_cvt_f64_f32_e32 v[4:5], v4
	v_mov_b32_e32 v8, s3
	v_addc_co_u32_e32 v7, vcc, v7, v8, vcc
	v_mul_f64 v[2:3], v[2:3], s[0:1]
	v_mul_f64 v[4:5], v[4:5], s[0:1]
	v_cvt_f32_f64_e32 v2, v[2:3]
	v_cvt_f32_f64_e32 v3, v[4:5]
	global_store_dwordx2 v[6:7], v[2:3], off
	global_load_dwordx2 v[8:9], v[10:11], off offset:960
	v_add_u32_e32 v2, 0x2000, v98
	ds_read2_b64 v[2:5], v2 offset0:120 offset1:224
	v_add_co_u32_e32 v6, vcc, s2, v6
	s_waitcnt vmcnt(0) lgkmcnt(0)
	v_mul_f32_e32 v14, v3, v9
	v_mul_f32_e32 v9, v2, v9
	v_fmac_f32_e32 v14, v2, v8
	v_fma_f32 v8, v8, v3, -v9
	v_cvt_f64_f32_e32 v[2:3], v14
	v_cvt_f64_f32_e32 v[8:9], v8
	v_mov_b32_e32 v14, s3
	v_addc_co_u32_e32 v7, vcc, v7, v14, vcc
	v_mul_f64 v[2:3], v[2:3], s[0:1]
	v_mul_f64 v[8:9], v[8:9], s[0:1]
	v_cvt_f32_f64_e32 v2, v[2:3]
	v_cvt_f32_f64_e32 v3, v[8:9]
	global_store_dwordx2 v[6:7], v[2:3], off
	global_load_dwordx2 v[2:3], v[10:11], off offset:1792
	v_add_co_u32_e32 v6, vcc, s2, v6
	s_waitcnt vmcnt(0)
	v_mul_f32_e32 v8, v5, v3
	v_mul_f32_e32 v3, v4, v3
	v_fmac_f32_e32 v8, v4, v2
	v_fma_f32 v4, v2, v5, -v3
	v_cvt_f64_f32_e32 v[2:3], v8
	v_cvt_f64_f32_e32 v[4:5], v4
	v_mov_b32_e32 v8, s3
	v_addc_co_u32_e32 v7, vcc, v7, v8, vcc
	v_mul_f64 v[2:3], v[2:3], s[0:1]
	v_mul_f64 v[4:5], v[4:5], s[0:1]
	v_cvt_f32_f64_e32 v2, v[2:3]
	v_cvt_f32_f64_e32 v3, v[4:5]
	global_store_dwordx2 v[6:7], v[2:3], off
	global_load_dwordx2 v[8:9], v[10:11], off offset:2624
	v_add_u32_e32 v2, 0x2800, v98
	ds_read2_b64 v[2:5], v2 offset0:72 offset1:176
	v_add_co_u32_e32 v6, vcc, s2, v6
	s_waitcnt vmcnt(0) lgkmcnt(0)
	v_mul_f32_e32 v14, v3, v9
	v_mul_f32_e32 v9, v2, v9
	v_fmac_f32_e32 v14, v2, v8
	v_fma_f32 v8, v8, v3, -v9
	v_cvt_f64_f32_e32 v[2:3], v14
	v_cvt_f64_f32_e32 v[8:9], v8
	v_mov_b32_e32 v14, s3
	v_addc_co_u32_e32 v7, vcc, v7, v14, vcc
	v_mul_f64 v[2:3], v[2:3], s[0:1]
	v_mul_f64 v[8:9], v[8:9], s[0:1]
	v_cvt_f32_f64_e32 v2, v[2:3]
	v_cvt_f32_f64_e32 v3, v[8:9]
	global_store_dwordx2 v[6:7], v[2:3], off
	global_load_dwordx2 v[2:3], v[10:11], off offset:3456
	v_mov_b32_e32 v10, s3
	s_waitcnt vmcnt(0)
	v_mul_f32_e32 v8, v5, v3
	v_mul_f32_e32 v3, v4, v3
	v_fmac_f32_e32 v8, v4, v2
	v_fma_f32 v4, v2, v5, -v3
	v_cvt_f64_f32_e32 v[2:3], v8
	v_cvt_f64_f32_e32 v[4:5], v4
	v_add_co_u32_e32 v8, vcc, s6, v12
	v_mul_f64 v[2:3], v[2:3], s[0:1]
	v_mul_f64 v[4:5], v[4:5], s[0:1]
	v_addc_co_u32_e32 v9, vcc, 0, v13, vcc
	v_add_co_u32_e32 v6, vcc, s2, v6
	v_addc_co_u32_e32 v7, vcc, v7, v10, vcc
	v_cvt_f32_f64_e32 v2, v[2:3]
	v_cvt_f32_f64_e32 v3, v[4:5]
	v_mov_b32_e32 v12, s3
	global_store_dwordx2 v[6:7], v[2:3], off
	global_load_dwordx2 v[8:9], v[8:9], off offset:192
	v_add_u32_e32 v2, 0x3000, v98
	ds_read2_b64 v[2:5], v2 offset0:24 offset1:128
	v_add_co_u32_e32 v6, vcc, s2, v6
	v_addc_co_u32_e32 v7, vcc, v7, v12, vcc
	s_waitcnt vmcnt(0) lgkmcnt(0)
	v_mul_f32_e32 v10, v3, v9
	v_mul_f32_e32 v9, v2, v9
	v_fmac_f32_e32 v10, v2, v8
	v_fma_f32 v8, v8, v3, -v9
	v_cvt_f64_f32_e32 v[2:3], v10
	v_cvt_f64_f32_e32 v[8:9], v8
	v_or_b32_e32 v10, 0x680, v196
	v_lshlrev_b32_e32 v11, 3, v10
	v_mul_f64 v[2:3], v[2:3], s[0:1]
	v_mul_f64 v[8:9], v[8:9], s[0:1]
	v_cvt_f32_f64_e32 v2, v[2:3]
	v_cvt_f32_f64_e32 v3, v[8:9]
	global_store_dwordx2 v[6:7], v[2:3], off
	global_load_dwordx2 v[2:3], v11, s[12:13]
	v_mad_u64_u32 v[6:7], s[2:3], s4, v10, 0
	s_waitcnt vmcnt(0)
	v_mul_f32_e32 v8, v5, v3
	v_mul_f32_e32 v3, v4, v3
	v_fmac_f32_e32 v8, v4, v2
	v_fma_f32 v4, v2, v5, -v3
	v_cvt_f64_f32_e32 v[2:3], v8
	v_cvt_f64_f32_e32 v[4:5], v4
	v_mul_f64 v[2:3], v[2:3], s[0:1]
	v_mul_f64 v[4:5], v[4:5], s[0:1]
	v_mad_u64_u32 v[7:8], s[0:1], s5, v10, v[7:8]
	v_lshlrev_b64 v[6:7], 3, v[6:7]
	v_cvt_f32_f64_e32 v2, v[2:3]
	v_cvt_f32_f64_e32 v3, v[4:5]
	v_add_co_u32_e32 v0, vcc, v0, v6
	v_addc_co_u32_e32 v1, vcc, v1, v7, vcc
	global_store_dwordx2 v[0:1], v[2:3], off
.LBB0_23:
	s_endpgm
	.section	.rodata,"a",@progbits
	.p2align	6, 0x0
	.amdhsa_kernel bluestein_single_fwd_len1768_dim1_sp_op_CI_CI
		.amdhsa_group_segment_fixed_size 14144
		.amdhsa_private_segment_fixed_size 0
		.amdhsa_kernarg_size 104
		.amdhsa_user_sgpr_count 6
		.amdhsa_user_sgpr_private_segment_buffer 1
		.amdhsa_user_sgpr_dispatch_ptr 0
		.amdhsa_user_sgpr_queue_ptr 0
		.amdhsa_user_sgpr_kernarg_segment_ptr 1
		.amdhsa_user_sgpr_dispatch_id 0
		.amdhsa_user_sgpr_flat_scratch_init 0
		.amdhsa_user_sgpr_private_segment_size 0
		.amdhsa_uses_dynamic_stack 0
		.amdhsa_system_sgpr_private_segment_wavefront_offset 0
		.amdhsa_system_sgpr_workgroup_id_x 1
		.amdhsa_system_sgpr_workgroup_id_y 0
		.amdhsa_system_sgpr_workgroup_id_z 0
		.amdhsa_system_sgpr_workgroup_info 0
		.amdhsa_system_vgpr_workitem_id 0
		.amdhsa_next_free_vgpr 256
		.amdhsa_next_free_sgpr 20
		.amdhsa_reserve_vcc 1
		.amdhsa_reserve_flat_scratch 0
		.amdhsa_float_round_mode_32 0
		.amdhsa_float_round_mode_16_64 0
		.amdhsa_float_denorm_mode_32 3
		.amdhsa_float_denorm_mode_16_64 3
		.amdhsa_dx10_clamp 1
		.amdhsa_ieee_mode 1
		.amdhsa_fp16_overflow 0
		.amdhsa_exception_fp_ieee_invalid_op 0
		.amdhsa_exception_fp_denorm_src 0
		.amdhsa_exception_fp_ieee_div_zero 0
		.amdhsa_exception_fp_ieee_overflow 0
		.amdhsa_exception_fp_ieee_underflow 0
		.amdhsa_exception_fp_ieee_inexact 0
		.amdhsa_exception_int_div_zero 0
	.end_amdhsa_kernel
	.text
.Lfunc_end0:
	.size	bluestein_single_fwd_len1768_dim1_sp_op_CI_CI, .Lfunc_end0-bluestein_single_fwd_len1768_dim1_sp_op_CI_CI
                                        ; -- End function
	.section	.AMDGPU.csdata,"",@progbits
; Kernel info:
; codeLenInByte = 23696
; NumSgprs: 24
; NumVgprs: 256
; ScratchSize: 0
; MemoryBound: 0
; FloatMode: 240
; IeeeMode: 1
; LDSByteSize: 14144 bytes/workgroup (compile time only)
; SGPRBlocks: 2
; VGPRBlocks: 63
; NumSGPRsForWavesPerEU: 24
; NumVGPRsForWavesPerEU: 256
; Occupancy: 1
; WaveLimiterHint : 1
; COMPUTE_PGM_RSRC2:SCRATCH_EN: 0
; COMPUTE_PGM_RSRC2:USER_SGPR: 6
; COMPUTE_PGM_RSRC2:TRAP_HANDLER: 0
; COMPUTE_PGM_RSRC2:TGID_X_EN: 1
; COMPUTE_PGM_RSRC2:TGID_Y_EN: 0
; COMPUTE_PGM_RSRC2:TGID_Z_EN: 0
; COMPUTE_PGM_RSRC2:TIDIG_COMP_CNT: 0
	.type	__hip_cuid_5c79f4539de95c42,@object ; @__hip_cuid_5c79f4539de95c42
	.section	.bss,"aw",@nobits
	.globl	__hip_cuid_5c79f4539de95c42
__hip_cuid_5c79f4539de95c42:
	.byte	0                               ; 0x0
	.size	__hip_cuid_5c79f4539de95c42, 1

	.ident	"AMD clang version 19.0.0git (https://github.com/RadeonOpenCompute/llvm-project roc-6.4.0 25133 c7fe45cf4b819c5991fe208aaa96edf142730f1d)"
	.section	".note.GNU-stack","",@progbits
	.addrsig
	.addrsig_sym __hip_cuid_5c79f4539de95c42
	.amdgpu_metadata
---
amdhsa.kernels:
  - .args:
      - .actual_access:  read_only
        .address_space:  global
        .offset:         0
        .size:           8
        .value_kind:     global_buffer
      - .actual_access:  read_only
        .address_space:  global
        .offset:         8
        .size:           8
        .value_kind:     global_buffer
      - .actual_access:  read_only
        .address_space:  global
        .offset:         16
        .size:           8
        .value_kind:     global_buffer
      - .actual_access:  read_only
        .address_space:  global
        .offset:         24
        .size:           8
        .value_kind:     global_buffer
      - .actual_access:  read_only
        .address_space:  global
        .offset:         32
        .size:           8
        .value_kind:     global_buffer
      - .offset:         40
        .size:           8
        .value_kind:     by_value
      - .address_space:  global
        .offset:         48
        .size:           8
        .value_kind:     global_buffer
      - .address_space:  global
        .offset:         56
        .size:           8
        .value_kind:     global_buffer
      - .address_space:  global
        .offset:         64
        .size:           8
        .value_kind:     global_buffer
      - .address_space:  global
        .offset:         72
        .size:           8
        .value_kind:     global_buffer
      - .offset:         80
        .size:           4
        .value_kind:     by_value
      - .address_space:  global
        .offset:         88
        .size:           8
        .value_kind:     global_buffer
      - .address_space:  global
        .offset:         96
        .size:           8
        .value_kind:     global_buffer
    .group_segment_fixed_size: 14144
    .kernarg_segment_align: 8
    .kernarg_segment_size: 104
    .language:       OpenCL C
    .language_version:
      - 2
      - 0
    .max_flat_workgroup_size: 136
    .name:           bluestein_single_fwd_len1768_dim1_sp_op_CI_CI
    .private_segment_fixed_size: 0
    .sgpr_count:     24
    .sgpr_spill_count: 0
    .symbol:         bluestein_single_fwd_len1768_dim1_sp_op_CI_CI.kd
    .uniform_work_group_size: 1
    .uses_dynamic_stack: false
    .vgpr_count:     256
    .vgpr_spill_count: 0
    .wavefront_size: 64
amdhsa.target:   amdgcn-amd-amdhsa--gfx906
amdhsa.version:
  - 1
  - 2
...

	.end_amdgpu_metadata
